;; amdgpu-corpus repo=ROCm/rocFFT kind=compiled arch=gfx950 opt=O3
	.text
	.amdgcn_target "amdgcn-amd-amdhsa--gfx950"
	.amdhsa_code_object_version 6
	.protected	bluestein_single_fwd_len1134_dim1_half_op_CI_CI ; -- Begin function bluestein_single_fwd_len1134_dim1_half_op_CI_CI
	.globl	bluestein_single_fwd_len1134_dim1_half_op_CI_CI
	.p2align	8
	.type	bluestein_single_fwd_len1134_dim1_half_op_CI_CI,@function
bluestein_single_fwd_len1134_dim1_half_op_CI_CI: ; @bluestein_single_fwd_len1134_dim1_half_op_CI_CI
; %bb.0:
	s_load_dwordx4 s[8:11], s[0:1], 0x28
	v_mul_u32_u24_e32 v1, 0x209, v0
	v_mov_b32_e32 v13, 0
	v_add_u32_sdwa v14, s2, v1 dst_sel:DWORD dst_unused:UNUSED_PAD src0_sel:DWORD src1_sel:WORD_1
	v_mov_b32_e32 v15, v13
	s_waitcnt lgkmcnt(0)
	v_cmp_gt_u64_e32 vcc, s[8:9], v[14:15]
	s_and_saveexec_b64 s[2:3], vcc
	s_cbranch_execz .LBB0_23
; %bb.1:
	s_load_dwordx4 s[4:7], s[0:1], 0x18
	s_load_dwordx2 s[14:15], s[0:1], 0x0
	v_mov_b32_e32 v2, s10
	v_mov_b32_e32 v3, s11
	s_movk_i32 s2, 0x7e
	s_waitcnt lgkmcnt(0)
	s_load_dwordx4 s[8:11], s[4:5], 0x0
	v_mul_lo_u16_sdwa v1, v1, s2 dst_sel:DWORD dst_unused:UNUSED_PAD src0_sel:WORD_1 src1_sel:DWORD
	v_sub_u16_e32 v12, v0, v1
	v_lshlrev_b32_e32 v8, 2, v12
	global_load_dword v60, v8, s[14:15]
	s_waitcnt lgkmcnt(0)
	v_mad_u64_u32 v[0:1], s[2:3], s10, v14, 0
	v_mov_b32_e32 v4, v1
	v_mad_u64_u32 v[4:5], s[2:3], s11, v14, v[4:5]
	v_mov_b32_e32 v1, v4
	v_mad_u64_u32 v[4:5], s[2:3], s8, v12, 0
	v_mov_b32_e32 v6, v5
	v_mad_u64_u32 v[6:7], s[2:3], s9, v12, v[6:7]
	s_mul_i32 s2, s9, 0x237
	s_mul_hi_u32 s3, s8, 0x237
	s_mul_hi_u32 s10, s8, 0xfffffe47
	v_mov_b32_e32 v5, v6
	v_lshl_add_u64 v[0:1], v[0:1], 2, v[2:3]
	s_add_i32 s3, s3, s2
	s_mul_i32 s2, s8, 0x237
	s_mulk_i32 s9, 0xfe47
	s_sub_i32 s10, s10, s8
	v_lshl_add_u64 v[0:1], v[4:5], 2, v[0:1]
	s_lshl_b64 s[4:5], s[2:3], 2
	s_add_i32 s17, s10, s9
	s_mul_i32 s16, s8, 0xfffffe47
	v_lshl_add_u64 v[2:3], v[0:1], 0, s[4:5]
	global_load_dword v59, v8, s[14:15] offset:2268
	global_load_dword v4, v[0:1], off
	s_lshl_b64 s[8:9], s[16:17], 2
	global_load_dword v5, v[2:3], off
	v_lshl_add_u64 v[0:1], v[2:3], 0, s[8:9]
	global_load_dword v2, v[0:1], off
	global_load_dword v58, v8, s[14:15] offset:504
	v_lshl_add_u64 v[0:1], v[0:1], 0, s[4:5]
	global_load_dword v3, v[0:1], off
	global_load_dword v57, v8, s[14:15] offset:2772
	;; [unrolled: 3-line block ×5, first 2 shown]
	global_load_dword v54, v8, s[14:15] offset:1512
	v_lshl_add_u64 v[0:1], v[0:1], 0, s[4:5]
	global_load_dword v17, v[0:1], off
	v_mov_b32_e32 v9, v13
	v_lshl_add_u64 v[10:11], s[14:15], 0, v[8:9]
	v_add_u32_e32 v18, 0xa00, v8
	s_load_dwordx2 s[12:13], s[0:1], 0x38
	s_load_dwordx4 s[8:11], s[6:7], 0x0
	v_cmp_gt_u16_e64 s[4:5], 63, v12
	s_waitcnt vmcnt(13)
	v_lshrrev_b32_e32 v9, 16, v4
	v_mul_f16_sdwa v19, v60, v4 dst_sel:DWORD dst_unused:UNUSED_PAD src0_sel:WORD_1 src1_sel:DWORD
	v_mul_f16_sdwa v20, v60, v9 dst_sel:DWORD dst_unused:UNUSED_PAD src0_sel:WORD_1 src1_sel:DWORD
	v_fma_f16 v9, v60, v9, -v19
	s_waitcnt vmcnt(12)
	v_lshrrev_b32_e32 v19, 16, v5
	v_mul_f16_sdwa v21, v59, v5 dst_sel:DWORD dst_unused:UNUSED_PAD src0_sel:WORD_1 src1_sel:DWORD
	v_fma_f16 v4, v60, v4, v20
	v_mul_f16_sdwa v20, v59, v19 dst_sel:DWORD dst_unused:UNUSED_PAD src0_sel:WORD_1 src1_sel:DWORD
	v_fma_f16 v19, v59, v19, -v21
	s_waitcnt vmcnt(11)
	v_lshrrev_b32_e32 v21, 16, v2
	s_waitcnt vmcnt(10)
	v_mul_f16_sdwa v22, v58, v2 dst_sel:DWORD dst_unused:UNUSED_PAD src0_sel:WORD_1 src1_sel:DWORD
	v_pack_b32_f16 v4, v4, v9
	v_fma_f16 v5, v59, v5, v20
	v_mul_f16_sdwa v9, v58, v21 dst_sel:DWORD dst_unused:UNUSED_PAD src0_sel:WORD_1 src1_sel:DWORD
	v_fma_f16 v20, v58, v21, -v22
	s_waitcnt vmcnt(9)
	v_lshrrev_b32_e32 v21, 16, v3
	s_waitcnt vmcnt(8)
	v_mul_f16_sdwa v22, v57, v3 dst_sel:DWORD dst_unused:UNUSED_PAD src0_sel:WORD_1 src1_sel:DWORD
	v_pack_b32_f16 v5, v5, v19
	v_fma_f16 v2, v58, v2, v9
	v_mul_f16_sdwa v9, v57, v21 dst_sel:DWORD dst_unused:UNUSED_PAD src0_sel:WORD_1 src1_sel:DWORD
	v_fma_f16 v19, v57, v21, -v22
	s_waitcnt vmcnt(7)
	v_lshrrev_b32_e32 v21, 16, v6
	s_waitcnt vmcnt(6)
	v_mul_f16_sdwa v22, v56, v6 dst_sel:DWORD dst_unused:UNUSED_PAD src0_sel:WORD_1 src1_sel:DWORD
	ds_write_b32 v8, v5 offset:2268
	v_pack_b32_f16 v2, v2, v20
	v_fma_f16 v3, v57, v3, v9
	v_mul_f16_sdwa v5, v56, v21 dst_sel:DWORD dst_unused:UNUSED_PAD src0_sel:WORD_1 src1_sel:DWORD
	s_waitcnt vmcnt(5)
	v_lshrrev_b32_e32 v20, 16, v7
	v_fma_f16 v9, v56, v21, -v22
	s_waitcnt vmcnt(4)
	v_mul_f16_sdwa v21, v55, v7 dst_sel:DWORD dst_unused:UNUSED_PAD src0_sel:WORD_1 src1_sel:DWORD
	ds_write2_b32 v8, v4, v2 offset1:126
	v_pack_b32_f16 v2, v3, v19
	v_fma_f16 v3, v56, v6, v5
	v_mul_f16_sdwa v4, v55, v20 dst_sel:DWORD dst_unused:UNUSED_PAD src0_sel:WORD_1 src1_sel:DWORD
	s_waitcnt vmcnt(3)
	v_lshrrev_b32_e32 v6, 16, v16
	v_fma_f16 v5, v55, v20, -v21
	s_waitcnt vmcnt(1)
	v_mul_f16_sdwa v19, v54, v16 dst_sel:DWORD dst_unused:UNUSED_PAD src0_sel:WORD_1 src1_sel:DWORD
	v_fma_f16 v4, v55, v7, v4
	v_mul_f16_sdwa v7, v54, v6 dst_sel:DWORD dst_unused:UNUSED_PAD src0_sel:WORD_1 src1_sel:DWORD
	v_fma_f16 v6, v54, v6, -v19
	v_pack_b32_f16 v4, v4, v5
	v_fma_f16 v5, v54, v16, v7
	v_pack_b32_f16 v3, v3, v9
	ds_write2_b32 v18, v2, v4 offset0:53 offset1:179
	v_pack_b32_f16 v4, v5, v6
	v_add_u32_e32 v2, 0x200, v8
	ds_write2_b32 v2, v3, v4 offset0:124 offset1:250
	s_waitcnt vmcnt(0)
	v_lshrrev_b32_e32 v3, 16, v17
	v_mul_f16_sdwa v4, v15, v3 dst_sel:DWORD dst_unused:UNUSED_PAD src0_sel:WORD_1 src1_sel:DWORD
	v_mul_f16_sdwa v5, v15, v17 dst_sel:DWORD dst_unused:UNUSED_PAD src0_sel:WORD_1 src1_sel:DWORD
	v_fma_f16 v4, v15, v17, v4
	v_fma_f16 v3, v15, v3, -v5
	v_pack_b32_f16 v3, v4, v3
	ds_write_b32 v8, v3 offset:3780
	s_and_saveexec_b64 s[6:7], s[4:5]
	s_cbranch_execz .LBB0_3
; %bb.2:
	v_lshl_add_u64 v[0:1], s[16:17], 2, v[0:1]
	global_load_dword v3, v[0:1], off
	global_load_dword v4, v[10:11], off offset:2016
	v_lshl_add_u64 v[0:1], s[2:3], 2, v[0:1]
	global_load_dword v5, v[0:1], off
	v_add_co_u32_e32 v0, vcc, 0x1000, v10
	s_waitcnt vmcnt(1)
	v_mul_f16_sdwa v6, v4, v3 dst_sel:DWORD dst_unused:UNUSED_PAD src0_sel:WORD_1 src1_sel:DWORD
	v_addc_co_u32_e32 v1, vcc, 0, v11, vcc
	global_load_dword v0, v[0:1], off offset:188
	v_lshrrev_b32_e32 v1, 16, v3
	v_mul_f16_sdwa v7, v4, v1 dst_sel:DWORD dst_unused:UNUSED_PAD src0_sel:WORD_1 src1_sel:DWORD
	v_fma_f16 v1, v4, v1, -v6
	s_waitcnt vmcnt(1)
	v_lshrrev_b32_e32 v6, 16, v5
	v_fma_f16 v3, v4, v3, v7
	v_pack_b32_f16 v1, v3, v1
	ds_write_b32 v8, v1 offset:2016
	s_waitcnt vmcnt(0)
	v_mul_f16_sdwa v9, v0, v5 dst_sel:DWORD dst_unused:UNUSED_PAD src0_sel:WORD_1 src1_sel:DWORD
	v_mul_f16_sdwa v4, v0, v6 dst_sel:DWORD dst_unused:UNUSED_PAD src0_sel:WORD_1 src1_sel:DWORD
	v_fma_f16 v6, v0, v6, -v9
	v_fma_f16 v0, v0, v5, v4
	v_pack_b32_f16 v0, v0, v6
	ds_write_b32 v8, v0 offset:4284
.LBB0_3:
	s_or_b64 exec, exec, s[6:7]
	v_add_u32_e32 v0, 0x800, v8
	s_waitcnt lgkmcnt(0)
	s_barrier
	ds_read2_b32 v[6:7], v8 offset1:126
	ds_read2_b32 v[16:17], v0 offset0:55 offset1:181
	ds_read2_b32 v[4:5], v2 offset0:124 offset1:250
	v_add_u32_e32 v0, 0xc00, v8
	s_load_dwordx2 s[0:1], s[0:1], 0x8
	ds_read2_b32 v[18:19], v0 offset0:51 offset1:177
                                        ; implicit-def: $vgpr20
                                        ; implicit-def: $vgpr9
	s_and_saveexec_b64 s[2:3], s[4:5]
	s_cbranch_execz .LBB0_5
; %bb.4:
	ds_read_b32 v20, v8 offset:2016
	ds_read_b32 v9, v8 offset:4284
.LBB0_5:
	s_or_b64 exec, exec, s[2:3]
	s_mov_b64 s[2:3], 0x7e
	v_lshl_add_u64 v[0:1], v[12:13], 0, s[2:3]
	s_mov_b64 s[2:3], 0xfc
	v_lshl_add_u64 v[2:3], v[12:13], 0, s[2:3]
	;; [unrolled: 2-line block ×3, first 2 shown]
	s_waitcnt lgkmcnt(0)
	v_pk_add_f16 v25, v6, v16 neg_lo:[0,1] neg_hi:[0,1]
	v_pk_add_f16 v17, v7, v17 neg_lo:[0,1] neg_hi:[0,1]
	;; [unrolled: 1-line block ×4, first 2 shown]
	v_lshlrev_b16_e32 v1, 1, v12
	v_lshlrev_b32_e32 v63, 3, v12
	v_pk_add_f16 v41, v20, v9 neg_lo:[0,1] neg_hi:[0,1]
	v_lshlrev_b32_e32 v13, 2, v1
	v_pk_fma_f16 v24, v6, 2.0, v25 op_sel_hi:[1,0,1] neg_lo:[0,0,1] neg_hi:[0,0,1]
	v_lshlrev_b32_e32 v61, 3, v0
	v_pk_fma_f16 v16, v7, 2.0, v17 op_sel_hi:[1,0,1] neg_lo:[0,0,1] neg_hi:[0,0,1]
	;; [unrolled: 2-line block ×3, first 2 shown]
	v_pk_fma_f16 v18, v5, 2.0, v19 op_sel_hi:[1,0,1] neg_lo:[0,0,1] neg_hi:[0,0,1]
	v_lshlrev_b32_e32 v9, 3, v22
	s_barrier
	ds_write_b64 v13, v[24:25]
	ds_write_b64 v61, v[16:17]
	;; [unrolled: 1-line block ×3, first 2 shown]
	ds_write_b64 v63, v[18:19] offset:3024
	s_and_saveexec_b64 s[2:3], s[4:5]
	s_cbranch_execz .LBB0_7
; %bb.6:
	v_pk_fma_f16 v40, v20, 2.0, v41 op_sel_hi:[1,0,1] neg_lo:[0,0,1] neg_hi:[0,0,1]
	ds_write_b64 v9, v[40:41]
.LBB0_7:
	s_or_b64 exec, exec, s[2:3]
	v_and_b32_e32 v22, 1, v12
	v_lshlrev_b32_e32 v1, 3, v22
	s_waitcnt lgkmcnt(0)
	s_barrier
	global_load_dwordx2 v[16:17], v1, s[0:1]
	v_add_u32_e32 v3, 0x200, v8
	ds_read2_b32 v[4:5], v8 offset1:126
	v_add_u32_e32 v40, 0xa00, v8
	v_add_u32_e32 v1, 0x600, v8
	ds_read_b32 v23, v8 offset:4032
	ds_read2_b32 v[6:7], v3 offset0:124 offset1:250
	ds_read2_b32 v[18:19], v40 offset0:116 offset1:242
	;; [unrolled: 1-line block ×3, first 2 shown]
	s_waitcnt lgkmcnt(4)
	v_lshrrev_b32_e32 v25, 16, v5
	s_movk_i32 s2, 0x3aee
	s_waitcnt lgkmcnt(2)
	v_lshrrev_b32_e32 v27, 16, v7
	v_lshrrev_b32_e32 v26, 16, v23
	s_waitcnt lgkmcnt(0)
	v_lshrrev_b32_e32 v32, 16, v21
	v_lshrrev_b32_e32 v28, 16, v18
	;; [unrolled: 1-line block ×5, first 2 shown]
	s_mov_b32 s3, 0xbaee
	v_lshrrev_b32_e32 v24, 16, v4
	s_barrier
	s_movk_i32 s6, 0xab
                                        ; implicit-def: $vgpr82
                                        ; implicit-def: $vgpr83
	s_waitcnt vmcnt(0)
	v_mul_f16_sdwa v44, v21, v16 dst_sel:DWORD dst_unused:UNUSED_PAD src0_sel:DWORD src1_sel:WORD_1
	v_mul_f16_sdwa v46, v23, v17 dst_sel:DWORD dst_unused:UNUSED_PAD src0_sel:DWORD src1_sel:WORD_1
	v_mul_f16_sdwa v38, v20, v16 dst_sel:DWORD dst_unused:UNUSED_PAD src0_sel:DWORD src1_sel:WORD_1
	v_mul_f16_sdwa v42, v19, v17 dst_sel:DWORD dst_unused:UNUSED_PAD src0_sel:DWORD src1_sel:WORD_1
	v_mul_f16_sdwa v43, v32, v16 dst_sel:DWORD dst_unused:UNUSED_PAD src0_sel:DWORD src1_sel:WORD_1
	v_mul_f16_sdwa v45, v26, v17 dst_sel:DWORD dst_unused:UNUSED_PAD src0_sel:DWORD src1_sel:WORD_1
	v_fma_f16 v32, v32, v16, v44
	v_fma_f16 v26, v26, v17, v46
	v_mul_f16_sdwa v33, v27, v16 dst_sel:DWORD dst_unused:UNUSED_PAD src0_sel:DWORD src1_sel:WORD_1
	v_mul_f16_sdwa v34, v7, v16 dst_sel:DWORD dst_unused:UNUSED_PAD src0_sel:DWORD src1_sel:WORD_1
	;; [unrolled: 1-line block ×6, first 2 shown]
	v_fma_f16 v29, v29, v16, v38
	v_fma_f16 v30, v30, v17, v42
	v_fma_f16 v21, v21, v16, -v43
	v_fma_f16 v23, v23, v17, -v45
	v_sub_f16_e32 v45, v32, v26
	v_add_f16_e32 v46, v31, v32
	v_add_f16_e32 v32, v32, v26
	v_fma_f16 v7, v7, v16, -v33
	v_fma_f16 v27, v27, v16, v34
	v_fma_f16 v18, v18, v17, -v35
	v_fma_f16 v28, v28, v17, v36
	v_fma_f16 v19, v19, v17, -v39
	v_sub_f16_e32 v39, v29, v30
	v_add_f16_e32 v42, v25, v29
	v_add_f16_e32 v29, v29, v30
	;; [unrolled: 1-line block ×4, first 2 shown]
	v_fma_f16 v31, v32, -0.5, v31
	v_sub_f16_e32 v21, v21, v23
	v_add_f16_e32 v34, v7, v18
	v_sub_f16_e32 v35, v27, v28
	v_add_f16_e32 v36, v24, v27
	v_add_f16_e32 v27, v27, v28
	v_fma_f16 v25, v29, -0.5, v25
	v_add_f16_e32 v29, v43, v23
	v_fma_f16 v23, v21, s3, v31
	v_fma_f16 v21, v21, s2, v31
	v_lshrrev_b32_e32 v31, 1, v12
	v_add_f16_e32 v33, v4, v7
	v_sub_f16_e32 v7, v7, v18
	v_fma_f16 v4, v34, -0.5, v4
	v_fma_f16 v24, v27, -0.5, v24
	v_mul_u32_u24_e32 v31, 6, v31
	v_add_f16_e32 v18, v33, v18
	v_add_f16_e32 v27, v42, v30
	v_fma_f16 v30, v35, s2, v4
	v_fma_f16 v4, v35, s3, v4
	;; [unrolled: 1-line block ×4, first 2 shown]
	v_or_b32_e32 v31, v31, v22
	v_fma_f16 v20, v20, v16, -v37
	v_lshlrev_b32_e32 v64, 2, v31
	v_pack_b32_f16 v4, v4, v7
	v_add_f16_e32 v38, v20, v19
	ds_write_b32 v64, v4 offset:16
	v_lshrrev_b32_e32 v4, 1, v0
	v_add_f16_e32 v37, v5, v20
	v_sub_f16_e32 v20, v20, v19
	v_fma_f16 v5, v38, -0.5, v5
	v_mul_u32_u24_e32 v4, 6, v4
	v_add_f16_e32 v28, v36, v28
	v_add_f16_e32 v19, v37, v19
	v_fma_f16 v24, v39, s2, v5
	v_fma_f16 v34, v20, s3, v25
	v_or_b32_e32 v4, v4, v22
	v_fma_f16 v5, v39, s3, v5
	v_fma_f16 v20, v20, s2, v25
	v_pack_b32_f16 v18, v18, v28
	v_pack_b32_f16 v28, v30, v33
	v_lshlrev_b32_e32 v65, 2, v4
	v_pack_b32_f16 v4, v19, v27
	v_pack_b32_f16 v7, v24, v34
	ds_write2_b32 v64, v18, v28 offset1:2
	ds_write2_b32 v65, v4, v7 offset1:2
	v_pack_b32_f16 v4, v5, v20
	ds_write_b32 v65, v4 offset:16
	v_lshrrev_b32_e32 v4, 1, v2
	v_fma_f16 v6, v44, -0.5, v6
	v_mul_u32_u24_e32 v4, 6, v4
	v_add_f16_e32 v26, v46, v26
	v_fma_f16 v25, v45, s2, v6
	v_or_b32_e32 v4, v4, v22
	v_fma_f16 v6, v45, s3, v6
	v_lshlrev_b32_e32 v66, 2, v4
	v_pack_b32_f16 v4, v29, v26
	v_pack_b32_f16 v5, v25, v23
	ds_write2_b32 v66, v4, v5 offset1:2
	v_pack_b32_f16 v4, v6, v21
	ds_write_b32 v66, v4 offset:16
	v_mul_lo_u16_sdwa v4, v12, s6 dst_sel:DWORD dst_unused:UNUSED_PAD src0_sel:BYTE_0 src1_sel:DWORD
	v_lshrrev_b16_e32 v30, 10, v4
	v_mul_lo_u16_e32 v4, 6, v30
	v_sub_u16_e32 v4, v12, v4
	v_and_b32_e32 v31, 0xff, v4
	v_lshlrev_b32_e32 v4, 3, v31
	s_waitcnt lgkmcnt(0)
	s_barrier
	global_load_dwordx2 v[18:19], v4, s[0:1] offset:16
	v_mul_lo_u16_sdwa v4, v0, s6 dst_sel:DWORD dst_unused:UNUSED_PAD src0_sel:BYTE_0 src1_sel:DWORD
	v_lshrrev_b16_e32 v32, 10, v4
	v_mul_lo_u16_e32 v4, 6, v32
	v_sub_u16_e32 v4, v0, v4
	v_and_b32_e32 v33, 0xff, v4
	v_lshlrev_b32_e32 v4, 3, v33
	s_mov_b32 s6, 0xaaab
	global_load_dwordx2 v[20:21], v4, s[0:1] offset:16
	v_mul_u32_u24_sdwa v4, v2, s6 dst_sel:DWORD dst_unused:UNUSED_PAD src0_sel:WORD_0 src1_sel:DWORD
	v_lshrrev_b32_e32 v34, 18, v4
	v_mul_lo_u16_e32 v4, 6, v34
	v_sub_u16_e32 v35, v2, v4
	v_lshlrev_b16_e32 v4, 3, v35
	v_mov_b32_e32 v5, 0
	v_lshl_add_u64 v[6:7], s[0:1], 0, v[4:5]
	global_load_dwordx2 v[22:23], v[6:7], off offset:16
	ds_read2_b32 v[6:7], v8 offset1:126
	ds_read2_b32 v[24:25], v3 offset0:124 offset1:250
	ds_read2_b32 v[26:27], v40 offset0:116 offset1:242
	;; [unrolled: 1-line block ×3, first 2 shown]
	ds_read_b32 v4, v8 offset:4032
	s_waitcnt lgkmcnt(4)
	v_lshrrev_b32_e32 v36, 16, v6
	s_waitcnt lgkmcnt(3)
	v_lshrrev_b32_e32 v37, 16, v25
	;; [unrolled: 2-line block ×4, first 2 shown]
	v_lshrrev_b32_e32 v45, 16, v29
	v_lshrrev_b32_e32 v38, 16, v26
	s_waitcnt lgkmcnt(0)
	v_lshrrev_b32_e32 v46, 16, v4
	v_lshrrev_b32_e32 v39, 16, v7
	;; [unrolled: 1-line block ×3, first 2 shown]
	s_barrier
	s_mov_b32 s6, 0xe38f
	s_waitcnt vmcnt(2)
	v_mul_f16_sdwa v47, v37, v18 dst_sel:DWORD dst_unused:UNUSED_PAD src0_sel:DWORD src1_sel:WORD_1
	v_mul_f16_sdwa v48, v25, v18 dst_sel:DWORD dst_unused:UNUSED_PAD src0_sel:DWORD src1_sel:WORD_1
	v_fma_f16 v25, v25, v18, -v47
	v_mul_f16_sdwa v49, v38, v19 dst_sel:DWORD dst_unused:UNUSED_PAD src0_sel:DWORD src1_sel:WORD_1
	v_mul_f16_sdwa v50, v26, v19 dst_sel:DWORD dst_unused:UNUSED_PAD src0_sel:DWORD src1_sel:WORD_1
	v_fma_f16 v26, v26, v19, -v49
	v_fma_f16 v37, v37, v18, v48
	v_fma_f16 v38, v38, v19, v50
	s_waitcnt vmcnt(1)
	v_mul_f16_sdwa v47, v42, v20 dst_sel:DWORD dst_unused:UNUSED_PAD src0_sel:DWORD src1_sel:WORD_1
	v_fma_f16 v47, v28, v20, -v47
	v_mul_f16_sdwa v28, v28, v20 dst_sel:DWORD dst_unused:UNUSED_PAD src0_sel:DWORD src1_sel:WORD_1
	v_fma_f16 v28, v42, v20, v28
	v_mul_f16_sdwa v42, v43, v21 dst_sel:DWORD dst_unused:UNUSED_PAD src0_sel:DWORD src1_sel:WORD_1
	v_fma_f16 v42, v27, v21, -v42
	v_mul_f16_sdwa v27, v27, v21 dst_sel:DWORD dst_unused:UNUSED_PAD src0_sel:DWORD src1_sel:WORD_1
	v_fma_f16 v27, v43, v21, v27
	s_waitcnt vmcnt(0)
	v_mul_f16_sdwa v43, v45, v22 dst_sel:DWORD dst_unused:UNUSED_PAD src0_sel:DWORD src1_sel:WORD_1
	v_fma_f16 v43, v29, v22, -v43
	v_mul_f16_sdwa v29, v29, v22 dst_sel:DWORD dst_unused:UNUSED_PAD src0_sel:DWORD src1_sel:WORD_1
	v_fma_f16 v29, v45, v22, v29
	v_mul_f16_sdwa v45, v46, v23 dst_sel:DWORD dst_unused:UNUSED_PAD src0_sel:DWORD src1_sel:WORD_1
	v_fma_f16 v45, v4, v23, -v45
	v_mul_f16_sdwa v4, v4, v23 dst_sel:DWORD dst_unused:UNUSED_PAD src0_sel:DWORD src1_sel:WORD_1
	v_add_f16_e32 v48, v25, v26
	v_fma_f16 v4, v46, v23, v4
	v_add_f16_e32 v46, v6, v25
	v_fma_f16 v6, v48, -0.5, v6
	v_sub_f16_e32 v48, v37, v38
	v_fma_f16 v49, v48, s2, v6
	v_fma_f16 v6, v48, s3, v6
	v_add_f16_e32 v48, v36, v37
	v_add_f16_e32 v37, v37, v38
	v_fma_f16 v36, v37, -0.5, v36
	v_sub_f16_e32 v25, v25, v26
	v_add_f16_e32 v37, v47, v42
	v_add_f16_e32 v46, v46, v26
	v_fma_f16 v26, v25, s3, v36
	v_fma_f16 v25, v25, s2, v36
	v_add_f16_e32 v36, v7, v47
	v_fma_f16 v7, v37, -0.5, v7
	v_sub_f16_e32 v37, v28, v27
	v_add_f16_e32 v48, v48, v38
	v_fma_f16 v38, v37, s2, v7
	v_fma_f16 v7, v37, s3, v7
	v_add_f16_e32 v37, v39, v28
	v_add_f16_e32 v37, v37, v27
	;; [unrolled: 1-line block ×4, first 2 shown]
	v_fma_f16 v27, v27, -0.5, v39
	v_sub_f16_e32 v28, v47, v42
	v_add_f16_e32 v42, v43, v45
	v_fma_f16 v39, v28, s3, v27
	v_fma_f16 v27, v28, s2, v27
	v_add_f16_e32 v28, v24, v43
	v_fma_f16 v24, v42, -0.5, v24
	v_sub_f16_e32 v42, v29, v4
	v_fma_f16 v47, v42, s2, v24
	v_fma_f16 v24, v42, s3, v24
	v_add_f16_e32 v42, v44, v29
	v_add_f16_e32 v42, v42, v4
	v_add_f16_e32 v4, v29, v4
	v_fma_f16 v4, v4, -0.5, v44
	v_sub_f16_e32 v29, v43, v45
	v_fma_f16 v43, v29, s3, v4
	v_fma_f16 v4, v29, s2, v4
	v_mul_u32_u24_e32 v29, 18, v30
	v_add_lshl_u32 v67, v29, v31, 2
	v_pack_b32_f16 v6, v6, v25
	ds_write_b32 v67, v6 offset:48
	v_mul_u32_u24_e32 v6, 18, v32
	v_pack_b32_f16 v29, v46, v48
	v_pack_b32_f16 v26, v49, v26
	v_add_lshl_u32 v68, v6, v33, 2
	v_pack_b32_f16 v6, v36, v37
	v_pack_b32_f16 v25, v38, v39
	ds_write2_b32 v67, v29, v26 offset1:6
	ds_write2_b32 v68, v6, v25 offset1:6
	v_pack_b32_f16 v6, v7, v27
	ds_write_b32 v68, v6 offset:48
	v_mad_legacy_u16 v6, v34, 18, v35
	v_add_f16_e32 v28, v28, v45
	v_lshlrev_b32_e32 v69, 2, v6
	v_pack_b32_f16 v4, v24, v4
	v_pack_b32_f16 v6, v28, v42
	;; [unrolled: 1-line block ×3, first 2 shown]
	ds_write_b32 v69, v4 offset:48
	v_mov_b32_e32 v4, 57
	ds_write2_b32 v69, v6, v7 offset1:6
	v_mul_lo_u16_sdwa v6, v12, v4 dst_sel:DWORD dst_unused:UNUSED_PAD src0_sel:BYTE_0 src1_sel:DWORD
	v_lshrrev_b16_e32 v36, 10, v6
	v_mul_lo_u16_e32 v6, 18, v36
	v_mul_lo_u16_sdwa v4, v0, v4 dst_sel:DWORD dst_unused:UNUSED_PAD src0_sel:BYTE_0 src1_sel:DWORD
	v_sub_u16_e32 v6, v12, v6
	v_lshrrev_b16_e32 v38, 10, v4
	v_and_b32_e32 v37, 0xff, v6
	v_mul_lo_u16_e32 v4, 18, v38
	v_lshlrev_b32_e32 v6, 3, v37
	v_sub_u16_e32 v4, v0, v4
	s_waitcnt lgkmcnt(0)
	s_barrier
	global_load_dwordx2 v[24:25], v6, s[0:1] offset:64
	v_and_b32_e32 v39, 0xff, v4
	v_lshlrev_b32_e32 v4, 3, v39
	global_load_dwordx2 v[26:27], v4, s[0:1] offset:64
	v_mul_u32_u24_sdwa v4, v2, s6 dst_sel:DWORD dst_unused:UNUSED_PAD src0_sel:WORD_0 src1_sel:DWORD
	v_lshrrev_b32_e32 v42, 20, v4
	v_mul_lo_u16_e32 v4, 18, v42
	v_sub_u16_e32 v43, v2, v4
	v_lshlrev_b16_e32 v4, 3, v43
	v_lshl_add_u64 v[6:7], s[0:1], 0, v[4:5]
	global_load_dwordx2 v[28:29], v[6:7], off offset:64
	ds_read2_b32 v[6:7], v8 offset1:126
	ds_read2_b32 v[30:31], v3 offset0:124 offset1:250
	ds_read2_b32 v[32:33], v40 offset0:116 offset1:242
	;; [unrolled: 1-line block ×3, first 2 shown]
	ds_read_b32 v46, v8 offset:4032
	s_waitcnt lgkmcnt(4)
	v_lshrrev_b32_e32 v4, 16, v6
	s_waitcnt lgkmcnt(3)
	v_lshrrev_b32_e32 v44, 16, v31
	;; [unrolled: 2-line block ×4, first 2 shown]
	v_lshrrev_b32_e32 v49, 16, v33
	v_lshrrev_b32_e32 v50, 16, v35
	s_waitcnt lgkmcnt(0)
	v_lshrrev_b32_e32 v51, 16, v46
	v_lshrrev_b32_e32 v47, 16, v7
	s_barrier
	s_waitcnt vmcnt(2)
	v_mul_f16_sdwa v52, v44, v24 dst_sel:DWORD dst_unused:UNUSED_PAD src0_sel:DWORD src1_sel:WORD_1
	v_fma_f16 v52, v31, v24, -v52
	v_mul_f16_sdwa v31, v31, v24 dst_sel:DWORD dst_unused:UNUSED_PAD src0_sel:DWORD src1_sel:WORD_1
	v_fma_f16 v31, v44, v24, v31
	v_mul_f16_sdwa v44, v45, v25 dst_sel:DWORD dst_unused:UNUSED_PAD src0_sel:DWORD src1_sel:WORD_1
	v_fma_f16 v44, v32, v25, -v44
	v_mul_f16_sdwa v32, v32, v25 dst_sel:DWORD dst_unused:UNUSED_PAD src0_sel:DWORD src1_sel:WORD_1
	v_fma_f16 v32, v45, v25, v32
	s_waitcnt vmcnt(1)
	v_mul_f16_sdwa v45, v48, v26 dst_sel:DWORD dst_unused:UNUSED_PAD src0_sel:DWORD src1_sel:WORD_1
	v_fma_f16 v45, v34, v26, -v45
	v_mul_f16_sdwa v34, v34, v26 dst_sel:DWORD dst_unused:UNUSED_PAD src0_sel:DWORD src1_sel:WORD_1
	v_fma_f16 v34, v48, v26, v34
	v_mul_f16_sdwa v48, v49, v27 dst_sel:DWORD dst_unused:UNUSED_PAD src0_sel:DWORD src1_sel:WORD_1
	v_fma_f16 v48, v33, v27, -v48
	v_mul_f16_sdwa v33, v33, v27 dst_sel:DWORD dst_unused:UNUSED_PAD src0_sel:DWORD src1_sel:WORD_1
	v_fma_f16 v33, v49, v27, v33
	;; [unrolled: 9-line block ×3, first 2 shown]
	v_add_f16_e32 v51, v52, v44
	v_fma_f16 v51, v51, -0.5, v6
	v_sub_f16_e32 v53, v31, v32
	v_fma_f16 v71, v53, s2, v51
	v_fma_f16 v51, v53, s3, v51
	v_add_f16_e32 v53, v4, v31
	v_add_f16_e32 v31, v31, v32
	v_add_f16_e32 v6, v6, v52
	v_add_f16_e32 v6, v6, v44
	v_fma_f16 v4, v31, -0.5, v4
	v_sub_f16_e32 v31, v52, v44
	v_add_f16_e32 v44, v45, v48
	v_add_f16_e32 v53, v53, v32
	v_fma_f16 v32, v31, s3, v4
	v_fma_f16 v4, v31, s2, v4
	v_add_f16_e32 v31, v7, v45
	v_fma_f16 v7, v44, -0.5, v7
	v_sub_f16_e32 v44, v34, v33
	v_fma_f16 v52, v44, s2, v7
	v_fma_f16 v7, v44, s3, v7
	v_add_f16_e32 v44, v47, v34
	v_add_f16_e32 v44, v44, v33
	;; [unrolled: 1-line block ×4, first 2 shown]
	v_fma_f16 v33, v33, -0.5, v47
	v_sub_f16_e32 v45, v45, v48
	v_add_f16_e32 v48, v49, v50
	v_lshrrev_b32_e32 v34, 16, v30
	v_fma_f16 v47, v45, s3, v33
	v_fma_f16 v33, v45, s2, v33
	v_add_f16_e32 v45, v30, v49
	v_fma_f16 v30, v48, -0.5, v30
	v_sub_f16_e32 v48, v35, v46
	v_fma_f16 v73, v48, s2, v30
	v_fma_f16 v30, v48, s3, v30
	v_add_f16_e32 v48, v34, v35
	v_add_f16_e32 v35, v35, v46
	v_fma_f16 v34, v35, -0.5, v34
	v_sub_f16_e32 v35, v49, v50
	v_add_f16_e32 v48, v48, v46
	v_fma_f16 v46, v35, s3, v34
	v_fma_f16 v34, v35, s2, v34
	v_mul_u32_u24_e32 v35, 54, v36
	v_add_lshl_u32 v70, v35, v37, 2
	v_pack_b32_f16 v4, v51, v4
	v_pack_b32_f16 v6, v6, v53
	;; [unrolled: 1-line block ×3, first 2 shown]
	ds_write_b32 v70, v4 offset:144
	v_mul_u32_u24_e32 v4, 54, v38
	ds_write2_b32 v70, v6, v32 offset1:18
	v_add_lshl_u32 v71, v4, v39, 2
	v_pack_b32_f16 v4, v31, v44
	v_pack_b32_f16 v6, v52, v47
	ds_write2_b32 v71, v4, v6 offset1:18
	v_pack_b32_f16 v4, v7, v33
	v_add_f16_e32 v45, v45, v50
	ds_write_b32 v71, v4 offset:144
	v_mad_legacy_u16 v4, v42, 54, v43
	v_lshlrev_b32_e32 v72, 2, v4
	v_pack_b32_f16 v4, v45, v48
	v_pack_b32_f16 v6, v73, v46
	ds_write2_b32 v72, v4, v6 offset1:18
	v_pack_b32_f16 v4, v30, v34
	ds_write_b32 v72, v4 offset:144
	v_lshrrev_b16_e32 v4, 1, v2
	v_mul_u32_u24_e32 v4, 0x97b5, v4
	v_lshrrev_b32_e32 v30, 20, v4
	v_mul_lo_u16_e32 v4, 54, v30
	v_sub_u16_e32 v31, v2, v4
	v_lshlrev_b16_e32 v4, 3, v31
	v_lshl_add_u64 v[4:5], s[0:1], 0, v[4:5]
	v_mov_b32_e32 v2, 19
	s_waitcnt lgkmcnt(0)
	s_barrier
	global_load_dwordx2 v[32:33], v[4:5], off offset:208
	v_mul_lo_u16_sdwa v4, v0, v2 dst_sel:DWORD dst_unused:UNUSED_PAD src0_sel:BYTE_0 src1_sel:DWORD
	v_mul_lo_u16_sdwa v2, v12, v2 dst_sel:DWORD dst_unused:UNUSED_PAD src0_sel:BYTE_0 src1_sel:DWORD
	v_lshrrev_b16_e32 v38, 10, v4
	v_lshrrev_b16_e32 v44, 10, v2
	v_mul_lo_u16_e32 v4, 54, v38
	v_mul_lo_u16_e32 v2, 54, v44
	v_sub_u16_e32 v4, v0, v4
	v_sub_u16_e32 v2, v12, v2
	v_and_b32_e32 v39, 0xff, v4
	v_and_b32_e32 v45, 0xff, v2
	v_lshlrev_b32_e32 v4, 3, v39
	v_lshlrev_b32_e32 v2, 3, v45
	global_load_dwordx2 v[34:35], v4, s[0:1] offset:208
	global_load_dwordx2 v[36:37], v2, s[0:1] offset:208
	ds_read2_b32 v[2:3], v3 offset0:124 offset1:250
	ds_read2_b32 v[4:5], v40 offset0:116 offset1:242
	;; [unrolled: 1-line block ×3, first 2 shown]
	ds_read_b32 v42, v8 offset:4032
	s_waitcnt lgkmcnt(3)
	v_lshrrev_b32_e32 v46, 16, v3
	s_waitcnt lgkmcnt(2)
	v_lshrrev_b32_e32 v47, 16, v4
	;; [unrolled: 2-line block ×4, first 2 shown]
	v_lshrrev_b32_e32 v48, 16, v6
	s_waitcnt vmcnt(2)
	v_mul_f16_sdwa v50, v43, v32 dst_sel:DWORD dst_unused:UNUSED_PAD src0_sel:DWORD src1_sel:WORD_1
	v_fma_f16 v50, v7, v32, -v50
	v_mul_f16_sdwa v7, v7, v32 dst_sel:DWORD dst_unused:UNUSED_PAD src0_sel:DWORD src1_sel:WORD_1
	v_fma_f16 v7, v43, v32, v7
	v_mul_f16_sdwa v43, v49, v33 dst_sel:DWORD dst_unused:UNUSED_PAD src0_sel:DWORD src1_sel:WORD_1
	v_fma_f16 v51, v42, v33, -v43
	v_mul_f16_sdwa v42, v42, v33 dst_sel:DWORD dst_unused:UNUSED_PAD src0_sel:DWORD src1_sel:WORD_1
	v_fma_f16 v49, v49, v33, v42
	v_add_f16_e32 v42, v50, v51
	v_fma_f16 v43, v42, -0.5, v2
	v_sub_f16_e32 v52, v7, v49
	v_fma_f16 v42, v52, s2, v43
	v_fma_f16 v43, v52, s3, v43
	v_lshrrev_b32_e32 v52, 16, v5
	s_waitcnt vmcnt(0)
	v_mul_f16_sdwa v73, v4, v37 dst_sel:DWORD dst_unused:UNUSED_PAD src0_sel:DWORD src1_sel:WORD_1
	v_mul_f16_sdwa v53, v48, v34 dst_sel:DWORD dst_unused:UNUSED_PAD src0_sel:DWORD src1_sel:WORD_1
	v_fma_f16 v73, v47, v37, v73
	v_mul_f16_sdwa v47, v47, v37 dst_sel:DWORD dst_unused:UNUSED_PAD src0_sel:DWORD src1_sel:WORD_1
	v_fma_f16 v53, v6, v34, -v53
	v_mul_f16_sdwa v6, v6, v34 dst_sel:DWORD dst_unused:UNUSED_PAD src0_sel:DWORD src1_sel:WORD_1
	v_fma_f16 v47, v4, v37, -v47
	v_mul_f16_sdwa v4, v52, v35 dst_sel:DWORD dst_unused:UNUSED_PAD src0_sel:DWORD src1_sel:WORD_1
	v_fma_f16 v6, v48, v34, v6
	v_fma_f16 v48, v5, v35, -v4
	v_mul_f16_sdwa v4, v3, v36 dst_sel:DWORD dst_unused:UNUSED_PAD src0_sel:DWORD src1_sel:WORD_1
	v_mul_f16_sdwa v74, v5, v35 dst_sel:DWORD dst_unused:UNUSED_PAD src0_sel:DWORD src1_sel:WORD_1
	v_fma_f16 v75, v46, v36, v4
	ds_read2_b32 v[4:5], v8 offset1:126
	v_mul_f16_sdwa v46, v46, v36 dst_sel:DWORD dst_unused:UNUSED_PAD src0_sel:DWORD src1_sel:WORD_1
	v_fma_f16 v3, v3, v36, -v46
	v_fma_f16 v46, v52, v35, v74
	v_add_f16_e32 v52, v3, v47
	s_waitcnt lgkmcnt(0)
	v_fma_f16 v52, v52, -0.5, v4
	v_sub_f16_e32 v74, v75, v73
	v_fma_f16 v78, v74, s2, v52
	v_fma_f16 v52, v74, s3, v52
	v_lshrrev_b32_e32 v74, 16, v4
	v_add_f16_e32 v76, v74, v75
	v_add_f16_e32 v79, v76, v73
	;; [unrolled: 1-line block ×3, first 2 shown]
	v_fma_f16 v73, v73, -0.5, v74
	v_add_f16_e32 v4, v4, v3
	v_sub_f16_e32 v3, v3, v47
	v_add_f16_e32 v4, v4, v47
	v_fma_f16 v47, v3, s3, v73
	v_fma_f16 v3, v3, s2, v73
	v_add_f16_e32 v73, v53, v48
	v_fma_f16 v73, v73, -0.5, v5
	v_lshrrev_b32_e32 v74, 16, v5
	v_sub_f16_e32 v75, v6, v46
	v_fma_f16 v80, v75, s2, v73
	v_fma_f16 v75, v75, s3, v73
	v_add_f16_e32 v73, v74, v6
	v_add_f16_e32 v6, v6, v46
	;; [unrolled: 1-line block ×4, first 2 shown]
	v_fma_f16 v6, v6, -0.5, v74
	v_sub_f16_e32 v46, v53, v48
	v_add_f16_e32 v5, v5, v48
	v_fma_f16 v48, v46, s3, v6
	v_fma_f16 v6, v46, s2, v6
	v_lshrrev_b32_e32 v46, 16, v2
	v_add_f16_e32 v53, v46, v7
	v_add_f16_e32 v7, v7, v49
	v_fma_f16 v7, v7, -0.5, v46
	v_sub_f16_e32 v46, v50, v51
	v_fma_f16 v76, v46, s3, v7
	v_fma_f16 v77, v46, s2, v7
	v_mul_u32_u24_e32 v7, 0xa2, v44
	v_add_lshl_u32 v73, v7, v45, 2
	v_pack_b32_f16 v3, v52, v3
	s_barrier
	v_pack_b32_f16 v4, v4, v79
	v_pack_b32_f16 v7, v78, v47
	ds_write_b32 v73, v3 offset:432
	v_mul_u32_u24_e32 v3, 0xa2, v38
	ds_write2_b32 v73, v4, v7 offset1:54
	v_add_lshl_u32 v74, v3, v39, 2
	v_pack_b32_f16 v3, v5, v81
	v_pack_b32_f16 v4, v80, v48
	v_add_f16_e32 v2, v2, v50
	s_movk_i32 s2, 0xa2
	ds_write2_b32 v74, v3, v4 offset1:54
	v_pack_b32_f16 v3, v75, v6
	v_add_f16_e32 v53, v53, v49
	v_add_f16_e32 v2, v2, v51
	ds_write_b32 v74, v3 offset:432
	v_mad_legacy_u16 v3, v30, s2, v31
	v_lshlrev_b32_e32 v75, 2, v3
	v_pack_b32_f16 v2, v2, v53
	v_pack_b32_f16 v3, v42, v76
	ds_write2_b32 v75, v2, v3 offset1:54
	v_pack_b32_f16 v2, v43, v77
	v_add_u32_e32 v79, 0x400, v8
	ds_write_b32 v75, v2 offset:432
	s_waitcnt lgkmcnt(0)
	s_barrier
	ds_read2_b32 v[44:45], v8 offset1:162
	ds_read2_b32 v[52:53], v79 offset0:68 offset1:230
	ds_read2_b32 v[50:51], v40 offset0:8 offset1:170
	ds_read_b32 v84, v8 offset:3888
	v_cmp_gt_u16_e64 s[2:3], 36, v12
                                        ; implicit-def: $vgpr47
                                        ; implicit-def: $vgpr80
                                        ; implicit-def: $vgpr49
                                        ; implicit-def: $vgpr81
                                        ; implicit-def: $vgpr78
	s_and_saveexec_b64 s[6:7], s[2:3]
	s_cbranch_execz .LBB0_9
; %bb.8:
	v_add_u32_e32 v2, 0x100, v8
	ds_read2_b32 v[42:43], v2 offset0:62 offset1:224
	ds_read2_b32 v[46:47], v1 offset0:66 offset1:228
	v_add_u32_e32 v1, 0xc00, v8
	ds_read2_b32 v[48:49], v1 offset0:6 offset1:168
	ds_read_b32 v78, v8 offset:4392
	s_waitcnt lgkmcnt(3)
	v_lshrrev_b32_e32 v76, 16, v42
	v_lshrrev_b32_e32 v77, 16, v43
	s_waitcnt lgkmcnt(2)
	v_lshrrev_b32_e32 v80, 16, v47
	s_waitcnt lgkmcnt(1)
	v_lshrrev_b32_e32 v83, 16, v48
	v_lshrrev_b32_e32 v81, 16, v49
	s_waitcnt lgkmcnt(0)
	v_lshrrev_b32_e32 v82, 16, v78
	v_mov_b32_e32 v41, v46
.LBB0_9:
	s_or_b64 exec, exec, s[6:7]
	v_mad_u64_u32 v[2:3], s[6:7], v12, 24, s[0:1]
	global_load_dwordx4 v[4:7], v[2:3], off offset:640
	global_load_dwordx2 v[38:39], v[2:3], off offset:656
	v_subrev_u32_e32 v1, 36, v12
	v_cndmask_b32_e64 v0, v1, v0, s[2:3]
	v_mul_hi_i32_i24_e32 v1, 24, v0
	v_mul_i32_i24_e32 v0, 24, v0
	v_lshl_add_u64 v[86:87], s[0:1], 0, v[0:1]
	global_load_dwordx4 v[0:3], v[86:87], off offset:640
	global_load_dwordx2 v[30:31], v[86:87], off offset:656
	s_waitcnt lgkmcnt(3)
	v_lshrrev_b32_e32 v46, 16, v45
	s_waitcnt lgkmcnt(2)
	v_lshrrev_b32_e32 v85, 16, v52
	;; [unrolled: 2-line block ×4, first 2 shown]
	v_lshrrev_b32_e32 v86, 16, v53
	v_lshrrev_b32_e32 v87, 16, v50
	;; [unrolled: 1-line block ×3, first 2 shown]
	s_movk_i32 s0, 0x2b26
	s_movk_i32 s1, 0x3b00
	s_mov_b32 s6, 0xbcab
	s_movk_i32 s7, 0x39e0
	s_mov_b32 s16, 0xb9e0
	s_movk_i32 s17, 0x3574
	s_mov_b32 s18, 0xb574
	s_movk_i32 s19, 0x370e
	s_waitcnt vmcnt(3)
	v_mul_f16_sdwa v91, v46, v4 dst_sel:DWORD dst_unused:UNUSED_PAD src0_sel:DWORD src1_sel:WORD_1
	v_mul_f16_sdwa v92, v45, v4 dst_sel:DWORD dst_unused:UNUSED_PAD src0_sel:DWORD src1_sel:WORD_1
	;; [unrolled: 1-line block ×4, first 2 shown]
	s_waitcnt vmcnt(2)
	v_mul_f16_sdwa v99, v88, v38 dst_sel:DWORD dst_unused:UNUSED_PAD src0_sel:DWORD src1_sel:WORD_1
	v_mul_f16_sdwa v100, v51, v38 dst_sel:DWORD dst_unused:UNUSED_PAD src0_sel:DWORD src1_sel:WORD_1
	;; [unrolled: 1-line block ×8, first 2 shown]
	v_fma_f16 v45, v45, v4, -v91
	v_fma_f16 v46, v46, v4, v92
	v_fma_f16 v52, v52, v5, -v93
	v_fma_f16 v85, v85, v5, v94
	;; [unrolled: 2-line block ×6, first 2 shown]
	v_add_f16_e32 v91, v45, v84
	v_add_f16_e32 v92, v46, v89
	v_sub_f16_e32 v45, v45, v84
	v_sub_f16_e32 v46, v46, v89
	v_add_f16_e32 v84, v52, v51
	v_add_f16_e32 v89, v85, v88
	v_sub_f16_e32 v51, v52, v51
	v_sub_f16_e32 v52, v85, v88
	;; [unrolled: 4-line block ×3, first 2 shown]
	s_waitcnt vmcnt(1)
	v_mul_f16_sdwa v86, v77, v0 dst_sel:DWORD dst_unused:UNUSED_PAD src0_sel:DWORD src1_sel:WORD_1
	v_mul_f16_sdwa v87, v43, v0 dst_sel:DWORD dst_unused:UNUSED_PAD src0_sel:DWORD src1_sel:WORD_1
	;; [unrolled: 1-line block ×4, first 2 shown]
	v_add_f16_e32 v103, v84, v91
	v_add_f16_e32 v104, v89, v92
	v_mul_f16_sdwa v95, v80, v2 dst_sel:DWORD dst_unused:UNUSED_PAD src0_sel:DWORD src1_sel:WORD_1
	v_mul_f16_sdwa v96, v47, v2 dst_sel:DWORD dst_unused:UNUSED_PAD src0_sel:DWORD src1_sel:WORD_1
	;; [unrolled: 1-line block ×3, first 2 shown]
	v_sub_f16_e32 v105, v84, v91
	v_sub_f16_e32 v106, v89, v92
	;; [unrolled: 1-line block ×6, first 2 shown]
	v_fma_f16 v43, v43, v0, -v86
	v_fma_f16 v77, v77, v0, v87
	v_fma_f16 v41, v41, v1, -v93
	v_fma_f16 v86, v90, v1, v94
	v_add_f16_e32 v87, v50, v51
	v_add_f16_e32 v90, v53, v52
	v_sub_f16_e32 v93, v50, v51
	v_sub_f16_e32 v94, v53, v52
	;; [unrolled: 1-line block ×4, first 2 shown]
	v_add_f16_e32 v85, v85, v103
	v_add_f16_e32 v88, v88, v104
	v_mul_f16_sdwa v98, v48, v3 dst_sel:DWORD dst_unused:UNUSED_PAD src0_sel:DWORD src1_sel:WORD_1
	s_waitcnt vmcnt(0)
	v_mul_f16_sdwa v99, v81, v30 dst_sel:DWORD dst_unused:UNUSED_PAD src0_sel:DWORD src1_sel:WORD_1
	v_fma_f16 v47, v47, v2, -v95
	v_fma_f16 v80, v80, v2, v96
	v_fma_f16 v48, v48, v3, -v97
	v_sub_f16_e32 v50, v45, v50
	v_sub_f16_e32 v53, v46, v53
	v_add_f16_e32 v45, v87, v45
	v_add_f16_e32 v46, v90, v46
	;; [unrolled: 1-line block ×3, first 2 shown]
	v_add_f16_sdwa v90, v44, v88 dst_sel:DWORD dst_unused:UNUSED_PAD src0_sel:WORD_1 src1_sel:DWORD
	v_mul_f16_e32 v44, 0x3a52, v91
	v_mul_f16_e32 v91, 0x3a52, v92
	;; [unrolled: 1-line block ×8, first 2 shown]
	v_mul_f16_sdwa v100, v49, v30 dst_sel:DWORD dst_unused:UNUSED_PAD src0_sel:DWORD src1_sel:WORD_1
	v_mul_f16_sdwa v101, v82, v31 dst_sel:DWORD dst_unused:UNUSED_PAD src0_sel:DWORD src1_sel:WORD_1
	;; [unrolled: 1-line block ×3, first 2 shown]
	v_fma_f16 v83, v83, v3, v98
	v_fma_f16 v49, v49, v30, -v99
	v_fma_f16 v85, v85, s6, v87
	v_fma_f16 v88, v88, s6, v90
	v_fma_f16 v84, v84, s0, v44
	v_fma_f16 v89, v89, s0, v91
	v_fma_f16 v92, v105, s7, -v92
	v_fma_f16 v95, v106, s7, -v95
	;; [unrolled: 1-line block ×4, first 2 shown]
	v_fma_f16 v98, v50, s17, v93
	v_fma_f16 v99, v53, s17, v94
	v_fma_f16 v51, v51, s1, -v93
	v_fma_f16 v52, v52, s1, -v94
	v_fma_f16 v50, v50, s18, -v96
	v_fma_f16 v53, v53, s18, -v97
	v_fma_f16 v81, v81, v30, v100
	v_fma_f16 v78, v78, v31, -v101
	v_fma_f16 v82, v82, v31, v102
	v_add_f16_e32 v84, v84, v85
	v_add_f16_e32 v89, v89, v88
	;; [unrolled: 1-line block ×6, first 2 shown]
	v_fma_f16 v88, v45, s19, v98
	v_fma_f16 v91, v46, s19, v99
	;; [unrolled: 1-line block ×6, first 2 shown]
	v_add_f16_e32 v95, v46, v44
	v_sub_f16_e32 v96, v85, v45
	v_sub_f16_e32 v97, v92, v52
	v_add_f16_e32 v92, v52, v92
	v_sub_f16_e32 v46, v44, v46
	v_add_f16_e32 v85, v45, v85
	v_add_f16_e32 v44, v43, v78
	;; [unrolled: 1-line block ×3, first 2 shown]
	v_sub_f16_e32 v52, v77, v82
	v_add_f16_e32 v53, v41, v49
	v_add_f16_e32 v77, v86, v81
	v_sub_f16_e32 v43, v43, v78
	v_sub_f16_e32 v41, v41, v49
	;; [unrolled: 1-line block ×3, first 2 shown]
	v_add_f16_e32 v78, v47, v48
	v_add_f16_e32 v81, v80, v83
	v_sub_f16_e32 v47, v48, v47
	v_sub_f16_e32 v48, v83, v80
	v_add_f16_e32 v80, v53, v44
	v_add_f16_e32 v82, v77, v45
	;; [unrolled: 1-line block ×3, first 2 shown]
	v_sub_f16_e32 v94, v89, v88
	v_add_f16_e32 v98, v51, v93
	v_sub_f16_e32 v51, v93, v51
	v_sub_f16_e32 v84, v84, v91
	v_add_f16_e32 v88, v88, v89
	v_sub_f16_e32 v83, v53, v44
	v_sub_f16_e32 v86, v77, v45
	;; [unrolled: 1-line block ×5, first 2 shown]
	v_add_f16_e32 v44, v47, v41
	v_add_f16_e32 v45, v48, v49
	v_sub_f16_e32 v93, v47, v41
	v_sub_f16_e32 v41, v41, v43
	v_add_f16_e32 v78, v78, v80
	v_add_f16_e32 v80, v81, v82
	v_sub_f16_e32 v77, v81, v77
	v_sub_f16_e32 v99, v48, v49
	;; [unrolled: 1-line block ×5, first 2 shown]
	v_add_f16_e32 v43, v44, v43
	v_add_f16_e32 v52, v45, v52
	;; [unrolled: 1-line block ×4, first 2 shown]
	v_mul_f16_e32 v42, 0x3a52, v89
	v_mul_f16_e32 v76, 0x3a52, v91
	;; [unrolled: 1-line block ×8, first 2 shown]
	v_fma_f16 v80, v80, s6, v45
	v_fma_f16 v53, v53, s0, v42
	;; [unrolled: 1-line block ×3, first 2 shown]
	v_fma_f16 v81, v83, s7, -v81
	v_fma_f16 v42, v83, s16, -v42
	;; [unrolled: 1-line block ×3, first 2 shown]
	v_fma_f16 v83, v47, s17, v89
	v_fma_f16 v47, v47, s18, -v93
	v_fma_f16 v78, v78, s6, v44
	v_fma_f16 v82, v86, s7, -v82
	;; [unrolled: 2-line block ×3, first 2 shown]
	v_fma_f16 v49, v49, s1, -v91
	v_fma_f16 v48, v48, s18, -v99
	v_add_f16_e32 v99, v76, v80
	v_fma_f16 v47, v43, s19, v47
	v_add_f16_e32 v89, v53, v78
	v_add_f16_e32 v91, v77, v80
	;; [unrolled: 1-line block ×4, first 2 shown]
	v_fma_f16 v100, v43, s19, v83
	v_fma_f16 v86, v52, s19, v86
	v_fma_f16 v76, v43, s19, v41
	v_fma_f16 v42, v52, s19, v49
	v_fma_f16 v43, v52, s19, v48
	v_sub_f16_e32 v83, v99, v47
	v_add_f16_e32 v52, v47, v99
	v_pack_b32_f16 v47, v87, v90
	v_pack_b32_f16 v48, v50, v94
	ds_write2_b32 v8, v47, v48 offset1:162
	v_pack_b32_f16 v47, v95, v96
	v_pack_b32_f16 v48, v97, v98
	v_add_f16_e32 v93, v82, v80
	ds_write2_b32 v79, v47, v48 offset0:68 offset1:230
	v_pack_b32_f16 v47, v92, v51
	v_pack_b32_f16 v46, v46, v85
	v_add_f16_e32 v80, v86, v89
	v_sub_f16_e32 v81, v91, v100
	v_add_f16_e32 v82, v43, v78
	v_sub_f16_e32 v41, v77, v42
	v_add_f16_e32 v53, v76, v93
	v_add_f16_e32 v42, v42, v77
	v_sub_f16_e32 v76, v93, v76
	v_sub_f16_e32 v43, v78, v43
	;; [unrolled: 1-line block ×3, first 2 shown]
	v_add_f16_e32 v78, v100, v91
	ds_write2_b32 v40, v47, v46 offset0:8 offset1:170
	v_pack_b32_f16 v40, v84, v88
	ds_write_b32 v8, v40 offset:3888
	s_and_saveexec_b64 s[0:1], s[2:3]
	s_cbranch_execz .LBB0_11
; %bb.10:
	s_mov_b32 s6, 0x5040100
	v_perm_b32 v40, v45, v44, s6
	v_perm_b32 v44, v81, v80, s6
	v_add_u32_e32 v45, 0x100, v8
	ds_write2_b32 v45, v40, v44 offset0:62 offset1:224
	v_perm_b32 v40, v83, v82, s6
	v_perm_b32 v44, v53, v41, s6
	v_add_u32_e32 v45, 0x600, v8
	ds_write2_b32 v45, v40, v44 offset0:66 offset1:228
	;; [unrolled: 4-line block ×3, first 2 shown]
	v_perm_b32 v40, v78, v77, s6
	ds_write_b32 v8, v40 offset:4392
.LBB0_11:
	s_or_b64 exec, exec, s[0:1]
	v_lshlrev_b32_e32 v44, 2, v12
	v_mov_b32_e32 v45, 0
	v_lshl_add_u64 v[46:47], s[14:15], 0, v[44:45]
	s_mov_b64 s[0:1], 0x11b8
	v_lshl_add_u64 v[44:45], v[46:47], 0, s[0:1]
	s_waitcnt lgkmcnt(0)
	s_barrier
	global_load_dword v49, v[44:45], off offset:504
	v_add_co_u32_e32 v46, vcc, 0x1000, v46
	v_add_u32_e32 v48, 0x800, v8
	s_nop 0
	v_addc_co_u32_e32 v47, vcc, 0, v47, vcc
	global_load_dword v51, v[46:47], off offset:440
	global_load_dword v79, v[44:45], off offset:2268
	;; [unrolled: 1-line block ×7, first 2 shown]
	ds_read2_b32 v[46:47], v8 offset1:126
	v_add_u32_e32 v40, 0x200, v8
	v_add_u32_e32 v50, 0xc00, v8
	;; [unrolled: 1-line block ×4, first 2 shown]
	s_waitcnt lgkmcnt(0)
	v_lshrrev_b32_e32 v84, 16, v46
	v_lshrrev_b32_e32 v85, 16, v47
	s_waitcnt vmcnt(6)
	v_mul_f16_sdwa v95, v84, v51 dst_sel:DWORD dst_unused:UNUSED_PAD src0_sel:DWORD src1_sel:WORD_1
	v_mul_f16_sdwa v86, v85, v49 dst_sel:DWORD dst_unused:UNUSED_PAD src0_sel:DWORD src1_sel:WORD_1
	;; [unrolled: 1-line block ×4, first 2 shown]
	v_fma_f16 v86, v47, v49, -v86
	v_fma_f16 v46, v46, v51, -v95
	v_fma_f16 v47, v84, v51, v96
	v_pack_b32_f16 v46, v46, v47
	ds_write_b32 v8, v46
	ds_read2_b32 v[46:47], v48 offset0:55 offset1:181
	v_fma_f16 v49, v85, v49, v87
	v_pack_b32_f16 v49, v86, v49
	ds_read2_b32 v[84:85], v40 offset0:124 offset1:250
	ds_read2_b32 v[86:87], v50 offset0:51 offset1:177
	s_waitcnt lgkmcnt(2)
	v_lshrrev_b32_e32 v51, 16, v46
	s_waitcnt vmcnt(5)
	v_mul_f16_sdwa v95, v46, v79 dst_sel:DWORD dst_unused:UNUSED_PAD src0_sel:DWORD src1_sel:WORD_1
	v_lshrrev_b32_e32 v96, 16, v47
	s_waitcnt vmcnt(4)
	v_mul_f16_sdwa v97, v47, v88 dst_sel:DWORD dst_unused:UNUSED_PAD src0_sel:DWORD src1_sel:WORD_1
	s_waitcnt lgkmcnt(1)
	v_lshrrev_b32_e32 v98, 16, v84
	s_waitcnt vmcnt(3)
	v_mul_f16_sdwa v99, v84, v89 dst_sel:DWORD dst_unused:UNUSED_PAD src0_sel:DWORD src1_sel:WORD_1
	s_waitcnt lgkmcnt(0)
	v_lshrrev_b32_e32 v100, 16, v86
	s_waitcnt vmcnt(2)
	v_mul_f16_sdwa v101, v86, v90 dst_sel:DWORD dst_unused:UNUSED_PAD src0_sel:DWORD src1_sel:WORD_1
	v_lshrrev_b32_e32 v102, 16, v85
	s_waitcnt vmcnt(0)
	v_mul_f16_sdwa v103, v85, v92 dst_sel:DWORD dst_unused:UNUSED_PAD src0_sel:DWORD src1_sel:WORD_1
	v_lshrrev_b32_e32 v104, 16, v87
	v_mul_f16_sdwa v106, v51, v79 dst_sel:DWORD dst_unused:UNUSED_PAD src0_sel:DWORD src1_sel:WORD_1
	v_fma_f16 v51, v51, v79, v95
	v_mul_f16_sdwa v95, v96, v88 dst_sel:DWORD dst_unused:UNUSED_PAD src0_sel:DWORD src1_sel:WORD_1
	v_fma_f16 v96, v96, v88, v97
	v_mul_f16_sdwa v97, v98, v89 dst_sel:DWORD dst_unused:UNUSED_PAD src0_sel:DWORD src1_sel:WORD_1
	v_mul_f16_sdwa v105, v87, v91 dst_sel:DWORD dst_unused:UNUSED_PAD src0_sel:DWORD src1_sel:WORD_1
	v_fma_f16 v98, v98, v89, v99
	v_mul_f16_sdwa v99, v100, v90 dst_sel:DWORD dst_unused:UNUSED_PAD src0_sel:DWORD src1_sel:WORD_1
	v_fma_f16 v100, v100, v90, v101
	;; [unrolled: 2-line block ×3, first 2 shown]
	v_mul_f16_sdwa v103, v104, v91 dst_sel:DWORD dst_unused:UNUSED_PAD src0_sel:DWORD src1_sel:WORD_1
	v_fma_f16 v46, v46, v79, -v106
	v_fma_f16 v79, v84, v89, -v97
	v_fma_f16 v104, v104, v91, v105
	v_fma_f16 v47, v47, v88, -v95
	v_fma_f16 v84, v86, v90, -v99
	;; [unrolled: 1-line block ×4, first 2 shown]
	v_pack_b32_f16 v46, v46, v51
	v_pack_b32_f16 v51, v79, v98
	;; [unrolled: 1-line block ×6, first 2 shown]
	ds_write2_b32 v8, v49, v51 offset0:126 offset1:252
	ds_write2_b32 v93, v47, v79 offset0:53 offset1:179
	;; [unrolled: 1-line block ×3, first 2 shown]
	ds_write_b32 v8, v85 offset:3780
	s_and_saveexec_b64 s[0:1], s[4:5]
	s_cbranch_execz .LBB0_13
; %bb.12:
	global_load_dword v46, v[44:45], off offset:2016
	v_add_co_u32_e32 v44, vcc, 0x1000, v44
	s_nop 1
	v_addc_co_u32_e32 v45, vcc, 0, v45, vcc
	global_load_dword v44, v[44:45], off offset:188
	ds_read_b32 v45, v8 offset:2016
	ds_read_b32 v47, v8 offset:4284
	s_waitcnt lgkmcnt(1)
	v_lshrrev_b32_e32 v49, 16, v45
	s_waitcnt lgkmcnt(0)
	v_lshrrev_b32_e32 v51, 16, v47
	s_waitcnt vmcnt(1)
	v_mul_f16_sdwa v79, v49, v46 dst_sel:DWORD dst_unused:UNUSED_PAD src0_sel:DWORD src1_sel:WORD_1
	v_mul_f16_sdwa v84, v45, v46 dst_sel:DWORD dst_unused:UNUSED_PAD src0_sel:DWORD src1_sel:WORD_1
	v_fma_f16 v45, v45, v46, -v79
	v_fma_f16 v46, v49, v46, v84
	v_pack_b32_f16 v45, v45, v46
	ds_write_b32 v8, v45 offset:2016
	s_waitcnt vmcnt(0)
	v_mul_f16_sdwa v46, v51, v44 dst_sel:DWORD dst_unused:UNUSED_PAD src0_sel:DWORD src1_sel:WORD_1
	v_mul_f16_sdwa v49, v47, v44 dst_sel:DWORD dst_unused:UNUSED_PAD src0_sel:DWORD src1_sel:WORD_1
	v_fma_f16 v45, v47, v44, -v46
	v_fma_f16 v44, v51, v44, v49
	v_pack_b32_f16 v44, v45, v44
	ds_write_b32 v8, v44 offset:4284
.LBB0_13:
	s_or_b64 exec, exec, s[0:1]
	s_waitcnt lgkmcnt(0)
	s_barrier
	ds_read2_b32 v[46:47], v8 offset1:126
	ds_read2_b32 v[48:49], v48 offset0:55 offset1:181
	ds_read2_b32 v[44:45], v40 offset0:124 offset1:250
	;; [unrolled: 1-line block ×3, first 2 shown]
	v_add_u32_e32 v63, 0xbd0, v63
	s_and_saveexec_b64 s[0:1], s[4:5]
	s_cbranch_execz .LBB0_15
; %bb.14:
	ds_read_b32 v80, v8 offset:2016
	ds_read_b32 v82, v8 offset:4284
	s_waitcnt lgkmcnt(1)
	v_lshrrev_b32_e32 v81, 16, v80
	s_waitcnt lgkmcnt(0)
	v_lshrrev_b32_e32 v83, 16, v82
.LBB0_15:
	s_or_b64 exec, exec, s[0:1]
	s_waitcnt lgkmcnt(2)
	v_pk_add_f16 v85, v46, v48 neg_lo:[0,1] neg_hi:[0,1]
	v_pk_add_f16 v87, v47, v49 neg_lo:[0,1] neg_hi:[0,1]
	s_waitcnt lgkmcnt(0)
	v_pk_add_f16 v89, v44, v50 neg_lo:[0,1] neg_hi:[0,1]
	v_pk_add_f16 v51, v45, v51 neg_lo:[0,1] neg_hi:[0,1]
	v_sub_f16_e32 v40, v80, v82
	v_sub_f16_e32 v48, v81, v83
	v_pk_fma_f16 v84, v46, 2.0, v85 op_sel_hi:[1,0,1] neg_lo:[0,0,1] neg_hi:[0,0,1]
	v_pk_fma_f16 v86, v47, 2.0, v87 op_sel_hi:[1,0,1] neg_lo:[0,0,1] neg_hi:[0,0,1]
	;; [unrolled: 1-line block ×4, first 2 shown]
	s_barrier
	ds_write_b64 v13, v[84:85]
	ds_write_b64 v61, v[86:87]
	;; [unrolled: 1-line block ×4, first 2 shown]
	s_and_saveexec_b64 s[0:1], s[4:5]
	s_cbranch_execz .LBB0_17
; %bb.16:
	v_fma_f16 v13, v80, 2.0, -v40
	v_fma_f16 v44, v81, 2.0, -v48
	s_mov_b32 s6, 0x5040100
	v_pack_b32_f16 v44, v13, v44
	v_perm_b32 v45, v48, v40, s6
	ds_write_b64 v9, v[44:45]
.LBB0_17:
	s_or_b64 exec, exec, s[0:1]
	v_add_u32_e32 v49, 0x200, v8
	s_waitcnt lgkmcnt(0)
	s_barrier
	ds_read2_b32 v[46:47], v49 offset0:124 offset1:250
	v_add_u32_e32 v9, 0xa00, v8
	ds_read2_b32 v[50:51], v9 offset0:116 offset1:242
	v_add_u32_e32 v13, 0x600, v8
	ds_read2_b32 v[62:63], v13 offset0:120 offset1:246
	s_waitcnt lgkmcnt(2)
	v_lshrrev_b32_e32 v79, 16, v47
	v_mul_f16_sdwa v88, v16, v79 dst_sel:DWORD dst_unused:UNUSED_PAD src0_sel:WORD_1 src1_sel:DWORD
	s_waitcnt lgkmcnt(1)
	v_lshrrev_b32_e32 v80, 16, v50
	v_fma_f16 v88, v16, v47, v88
	v_mul_f16_sdwa v47, v16, v47 dst_sel:DWORD dst_unused:UNUSED_PAD src0_sel:WORD_1 src1_sel:DWORD
	v_fma_f16 v47, v16, v79, -v47
	v_mul_f16_sdwa v79, v17, v80 dst_sel:DWORD dst_unused:UNUSED_PAD src0_sel:WORD_1 src1_sel:DWORD
	s_waitcnt lgkmcnt(0)
	v_lshrrev_b32_e32 v83, 16, v62
	v_fma_f16 v79, v17, v50, v79
	v_mul_f16_sdwa v50, v17, v50 dst_sel:DWORD dst_unused:UNUSED_PAD src0_sel:WORD_1 src1_sel:DWORD
	ds_read_b32 v82, v8 offset:4032
	v_fma_f16 v50, v17, v80, -v50
	v_mul_f16_sdwa v80, v16, v83 dst_sel:DWORD dst_unused:UNUSED_PAD src0_sel:WORD_1 src1_sel:DWORD
	v_lshrrev_b32_e32 v84, 16, v51
	v_fma_f16 v80, v16, v62, v80
	v_mul_f16_sdwa v62, v16, v62 dst_sel:DWORD dst_unused:UNUSED_PAD src0_sel:WORD_1 src1_sel:DWORD
	v_fma_f16 v62, v16, v83, -v62
	v_mul_f16_sdwa v83, v17, v84 dst_sel:DWORD dst_unused:UNUSED_PAD src0_sel:WORD_1 src1_sel:DWORD
	ds_read2_b32 v[44:45], v8 offset1:126
	v_lshrrev_b32_e32 v86, 16, v63
	v_fma_f16 v83, v17, v51, v83
	v_mul_f16_sdwa v51, v17, v51 dst_sel:DWORD dst_unused:UNUSED_PAD src0_sel:WORD_1 src1_sel:DWORD
	v_fma_f16 v51, v17, v84, -v51
	v_mul_f16_sdwa v84, v16, v86 dst_sel:DWORD dst_unused:UNUSED_PAD src0_sel:WORD_1 src1_sel:DWORD
	s_waitcnt lgkmcnt(1)
	v_lshrrev_b32_e32 v87, 16, v82
	v_fma_f16 v84, v16, v63, v84
	v_mul_f16_sdwa v63, v16, v63 dst_sel:DWORD dst_unused:UNUSED_PAD src0_sel:WORD_1 src1_sel:DWORD
	v_fma_f16 v16, v16, v86, -v63
	v_mul_f16_sdwa v63, v17, v87 dst_sel:DWORD dst_unused:UNUSED_PAD src0_sel:WORD_1 src1_sel:DWORD
	v_fma_f16 v63, v17, v82, v63
	v_mul_f16_sdwa v82, v17, v82 dst_sel:DWORD dst_unused:UNUSED_PAD src0_sel:WORD_1 src1_sel:DWORD
	v_add_f16_e32 v86, v88, v79
	s_waitcnt lgkmcnt(0)
	v_lshrrev_b32_e32 v61, 16, v44
	v_fma_f16 v17, v17, v87, -v82
	v_add_f16_e32 v82, v44, v88
	v_fma_f16 v44, v86, -0.5, v44
	v_sub_f16_e32 v86, v47, v50
	s_mov_b32 s0, 0xbaee
	s_movk_i32 s1, 0x3aee
	v_fma_f16 v87, v86, s0, v44
	v_fma_f16 v44, v86, s1, v44
	v_add_f16_e32 v86, v61, v47
	v_add_f16_e32 v47, v47, v50
	;; [unrolled: 1-line block ×4, first 2 shown]
	v_fma_f16 v47, v47, -0.5, v61
	v_sub_f16_e32 v50, v88, v79
	v_add_f16_e32 v79, v80, v83
	v_lshrrev_b32_e32 v81, 16, v45
	v_fma_f16 v61, v50, s1, v47
	v_fma_f16 v47, v50, s0, v47
	v_add_f16_e32 v50, v45, v80
	v_fma_f16 v45, v79, -0.5, v45
	v_sub_f16_e32 v79, v62, v51
	v_fma_f16 v88, v79, s0, v45
	v_fma_f16 v45, v79, s1, v45
	v_add_f16_e32 v79, v81, v62
	v_add_f16_e32 v79, v79, v51
	;; [unrolled: 1-line block ×3, first 2 shown]
	v_fma_f16 v51, v51, -0.5, v81
	v_sub_f16_e32 v62, v80, v83
	v_add_f16_e32 v81, v84, v63
	v_lshrrev_b32_e32 v85, 16, v46
	v_fma_f16 v80, v62, s1, v51
	v_fma_f16 v51, v62, s0, v51
	v_add_f16_e32 v62, v46, v84
	v_fma_f16 v46, v81, -0.5, v46
	v_sub_f16_e32 v81, v16, v17
	v_add_f16_e32 v50, v50, v83
	v_fma_f16 v83, v81, s0, v46
	v_fma_f16 v46, v81, s1, v46
	v_add_f16_e32 v81, v85, v16
	v_add_f16_e32 v16, v16, v17
	;; [unrolled: 1-line block ×3, first 2 shown]
	v_fma_f16 v16, v16, -0.5, v85
	v_sub_f16_e32 v17, v84, v63
	v_add_f16_e32 v62, v62, v63
	v_fma_f16 v63, v17, s1, v16
	v_fma_f16 v16, v17, s0, v16
	v_pack_b32_f16 v17, v82, v86
	v_pack_b32_f16 v61, v87, v61
	s_barrier
	ds_write2_b32 v64, v17, v61 offset1:2
	v_pack_b32_f16 v17, v44, v47
	ds_write_b32 v64, v17 offset:16
	v_pack_b32_f16 v17, v50, v79
	v_pack_b32_f16 v44, v88, v80
	ds_write2_b32 v65, v17, v44 offset1:2
	v_pack_b32_f16 v17, v45, v51
	ds_write_b32 v65, v17 offset:16
	v_pack_b32_f16 v17, v62, v81
	v_pack_b32_f16 v44, v83, v63
	;; [unrolled: 1-line block ×3, first 2 shown]
	ds_write2_b32 v66, v17, v44 offset1:2
	ds_write_b32 v66, v16 offset:16
	s_waitcnt lgkmcnt(0)
	s_barrier
	ds_read2_b32 v[16:17], v8 offset1:126
	ds_read2_b32 v[44:45], v49 offset0:124 offset1:250
	ds_read2_b32 v[46:47], v9 offset0:116 offset1:242
	;; [unrolled: 1-line block ×3, first 2 shown]
	ds_read_b32 v65, v8 offset:4032
	s_waitcnt lgkmcnt(4)
	v_lshrrev_b32_e32 v61, 16, v16
	s_waitcnt lgkmcnt(3)
	v_lshrrev_b32_e32 v62, 16, v45
	v_mul_f16_sdwa v83, v18, v62 dst_sel:DWORD dst_unused:UNUSED_PAD src0_sel:WORD_1 src1_sel:DWORD
	s_waitcnt lgkmcnt(2)
	v_lshrrev_b32_e32 v63, 16, v46
	v_fma_f16 v83, v18, v45, v83
	v_mul_f16_sdwa v45, v18, v45 dst_sel:DWORD dst_unused:UNUSED_PAD src0_sel:WORD_1 src1_sel:DWORD
	v_fma_f16 v18, v18, v62, -v45
	v_mul_f16_sdwa v45, v19, v63 dst_sel:DWORD dst_unused:UNUSED_PAD src0_sel:WORD_1 src1_sel:DWORD
	s_waitcnt lgkmcnt(1)
	v_lshrrev_b32_e32 v66, 16, v50
	v_fma_f16 v45, v19, v46, v45
	v_mul_f16_sdwa v46, v19, v46 dst_sel:DWORD dst_unused:UNUSED_PAD src0_sel:WORD_1 src1_sel:DWORD
	v_fma_f16 v19, v19, v63, -v46
	v_mul_f16_sdwa v46, v20, v66 dst_sel:DWORD dst_unused:UNUSED_PAD src0_sel:WORD_1 src1_sel:DWORD
	v_lshrrev_b32_e32 v79, 16, v47
	v_fma_f16 v46, v20, v50, v46
	v_mul_f16_sdwa v50, v20, v50 dst_sel:DWORD dst_unused:UNUSED_PAD src0_sel:WORD_1 src1_sel:DWORD
	v_fma_f16 v20, v20, v66, -v50
	v_mul_f16_sdwa v50, v21, v79 dst_sel:DWORD dst_unused:UNUSED_PAD src0_sel:WORD_1 src1_sel:DWORD
	;; [unrolled: 5-line block ×3, first 2 shown]
	s_waitcnt lgkmcnt(0)
	v_lshrrev_b32_e32 v82, 16, v65
	v_fma_f16 v47, v22, v51, v47
	v_mul_f16_sdwa v51, v22, v51 dst_sel:DWORD dst_unused:UNUSED_PAD src0_sel:WORD_1 src1_sel:DWORD
	v_fma_f16 v22, v22, v81, -v51
	v_mul_f16_sdwa v51, v23, v82 dst_sel:DWORD dst_unused:UNUSED_PAD src0_sel:WORD_1 src1_sel:DWORD
	v_mul_f16_sdwa v62, v23, v65 dst_sel:DWORD dst_unused:UNUSED_PAD src0_sel:WORD_1 src1_sel:DWORD
	v_add_f16_e32 v63, v83, v45
	v_fma_f16 v51, v23, v65, v51
	v_fma_f16 v23, v23, v82, -v62
	v_add_f16_e32 v62, v16, v83
	v_fma_f16 v16, v63, -0.5, v16
	v_sub_f16_e32 v63, v18, v19
	v_fma_f16 v65, v63, s0, v16
	v_fma_f16 v16, v63, s1, v16
	v_add_f16_e32 v63, v61, v18
	v_add_f16_e32 v18, v18, v19
	;; [unrolled: 1-line block ×3, first 2 shown]
	v_fma_f16 v18, v18, -0.5, v61
	v_sub_f16_e32 v19, v83, v45
	v_add_f16_e32 v61, v46, v50
	v_lshrrev_b32_e32 v64, 16, v17
	v_add_f16_e32 v62, v62, v45
	v_fma_f16 v45, v19, s1, v18
	v_fma_f16 v18, v19, s0, v18
	v_add_f16_e32 v19, v17, v46
	v_fma_f16 v17, v61, -0.5, v17
	v_sub_f16_e32 v61, v20, v21
	v_fma_f16 v66, v61, s0, v17
	v_fma_f16 v17, v61, s1, v17
	v_add_f16_e32 v61, v64, v20
	v_add_f16_e32 v20, v20, v21
	;; [unrolled: 1-line block ×4, first 2 shown]
	v_fma_f16 v20, v20, -0.5, v64
	v_sub_f16_e32 v21, v46, v50
	v_add_f16_e32 v50, v47, v51
	v_lshrrev_b32_e32 v80, 16, v44
	v_fma_f16 v46, v21, s1, v20
	v_fma_f16 v20, v21, s0, v20
	v_add_f16_e32 v21, v44, v47
	v_fma_f16 v44, v50, -0.5, v44
	v_sub_f16_e32 v50, v22, v23
	v_fma_f16 v64, v50, s0, v44
	v_fma_f16 v44, v50, s1, v44
	v_add_f16_e32 v50, v80, v22
	v_add_f16_e32 v22, v22, v23
	v_add_f16_e32 v50, v50, v23
	v_fma_f16 v22, v22, -0.5, v80
	v_sub_f16_e32 v23, v47, v51
	v_pack_b32_f16 v16, v16, v18
	v_fma_f16 v47, v23, s1, v22
	v_fma_f16 v22, v23, s0, v22
	s_barrier
	v_pack_b32_f16 v23, v62, v63
	v_pack_b32_f16 v45, v65, v45
	ds_write_b32 v67, v16 offset:48
	v_pack_b32_f16 v16, v19, v61
	v_pack_b32_f16 v18, v66, v46
	v_add_f16_e32 v21, v21, v51
	ds_write2_b32 v67, v23, v45 offset1:6
	ds_write2_b32 v68, v16, v18 offset1:6
	v_pack_b32_f16 v16, v17, v20
	ds_write_b32 v68, v16 offset:48
	v_pack_b32_f16 v16, v21, v50
	v_pack_b32_f16 v17, v64, v47
	ds_write2_b32 v69, v16, v17 offset1:6
	v_pack_b32_f16 v16, v44, v22
	ds_write_b32 v69, v16 offset:48
	s_waitcnt lgkmcnt(0)
	s_barrier
	ds_read2_b32 v[16:17], v8 offset1:126
	ds_read2_b32 v[18:19], v49 offset0:124 offset1:250
	ds_read2_b32 v[20:21], v9 offset0:116 offset1:242
	;; [unrolled: 1-line block ×3, first 2 shown]
	ds_read_b32 v50, v8 offset:4032
	s_waitcnt lgkmcnt(4)
	v_lshrrev_b32_e32 v44, 16, v16
	s_waitcnt lgkmcnt(3)
	v_lshrrev_b32_e32 v45, 16, v19
	v_mul_f16_sdwa v65, v24, v45 dst_sel:DWORD dst_unused:UNUSED_PAD src0_sel:WORD_1 src1_sel:DWORD
	s_waitcnt lgkmcnt(2)
	v_lshrrev_b32_e32 v46, 16, v20
	v_fma_f16 v65, v24, v19, v65
	v_mul_f16_sdwa v19, v24, v19 dst_sel:DWORD dst_unused:UNUSED_PAD src0_sel:WORD_1 src1_sel:DWORD
	v_fma_f16 v19, v24, v45, -v19
	v_mul_f16_sdwa v24, v25, v46 dst_sel:DWORD dst_unused:UNUSED_PAD src0_sel:WORD_1 src1_sel:DWORD
	s_waitcnt lgkmcnt(1)
	v_lshrrev_b32_e32 v51, 16, v22
	v_fma_f16 v24, v25, v20, v24
	v_mul_f16_sdwa v20, v25, v20 dst_sel:DWORD dst_unused:UNUSED_PAD src0_sel:WORD_1 src1_sel:DWORD
	v_fma_f16 v20, v25, v46, -v20
	v_mul_f16_sdwa v25, v26, v51 dst_sel:DWORD dst_unused:UNUSED_PAD src0_sel:WORD_1 src1_sel:DWORD
	v_lshrrev_b32_e32 v61, 16, v21
	v_fma_f16 v25, v26, v22, v25
	v_mul_f16_sdwa v22, v26, v22 dst_sel:DWORD dst_unused:UNUSED_PAD src0_sel:WORD_1 src1_sel:DWORD
	v_fma_f16 v22, v26, v51, -v22
	v_mul_f16_sdwa v26, v27, v61 dst_sel:DWORD dst_unused:UNUSED_PAD src0_sel:WORD_1 src1_sel:DWORD
	;; [unrolled: 5-line block ×3, first 2 shown]
	s_waitcnt lgkmcnt(0)
	v_lshrrev_b32_e32 v64, 16, v50
	v_fma_f16 v27, v28, v23, v27
	v_mul_f16_sdwa v23, v28, v23 dst_sel:DWORD dst_unused:UNUSED_PAD src0_sel:WORD_1 src1_sel:DWORD
	v_fma_f16 v23, v28, v63, -v23
	v_mul_f16_sdwa v28, v29, v64 dst_sel:DWORD dst_unused:UNUSED_PAD src0_sel:WORD_1 src1_sel:DWORD
	v_mul_f16_sdwa v45, v29, v50 dst_sel:DWORD dst_unused:UNUSED_PAD src0_sel:WORD_1 src1_sel:DWORD
	v_add_f16_e32 v46, v65, v24
	v_fma_f16 v28, v29, v50, v28
	v_fma_f16 v29, v29, v64, -v45
	v_add_f16_e32 v45, v16, v65
	v_fma_f16 v16, v46, -0.5, v16
	v_sub_f16_e32 v46, v19, v20
	v_fma_f16 v50, v46, s0, v16
	v_fma_f16 v16, v46, s1, v16
	v_add_f16_e32 v46, v44, v19
	v_add_f16_e32 v19, v19, v20
	;; [unrolled: 1-line block ×3, first 2 shown]
	v_fma_f16 v19, v19, -0.5, v44
	v_sub_f16_e32 v20, v65, v24
	v_add_f16_e32 v44, v25, v26
	v_lshrrev_b32_e32 v47, 16, v17
	v_add_f16_e32 v45, v45, v24
	v_fma_f16 v24, v20, s1, v19
	v_fma_f16 v19, v20, s0, v19
	v_add_f16_e32 v20, v17, v25
	v_fma_f16 v17, v44, -0.5, v17
	v_sub_f16_e32 v44, v22, v21
	v_fma_f16 v51, v44, s0, v17
	v_fma_f16 v17, v44, s1, v17
	v_add_f16_e32 v44, v47, v22
	v_add_f16_e32 v44, v44, v21
	;; [unrolled: 1-line block ×4, first 2 shown]
	v_fma_f16 v21, v21, -0.5, v47
	v_sub_f16_e32 v22, v25, v26
	v_add_f16_e32 v26, v27, v28
	v_lshrrev_b32_e32 v62, 16, v18
	v_fma_f16 v25, v22, s1, v21
	v_fma_f16 v21, v22, s0, v21
	v_add_f16_e32 v22, v18, v27
	v_fma_f16 v18, v26, -0.5, v18
	v_sub_f16_e32 v26, v23, v29
	v_fma_f16 v47, v26, s0, v18
	v_fma_f16 v18, v26, s1, v18
	v_add_f16_e32 v26, v62, v23
	v_add_f16_e32 v23, v23, v29
	v_fma_f16 v23, v23, -0.5, v62
	v_sub_f16_e32 v27, v27, v28
	v_pack_b32_f16 v16, v16, v19
	v_add_f16_e32 v22, v22, v28
	v_fma_f16 v28, v27, s1, v23
	v_fma_f16 v23, v27, s0, v23
	s_barrier
	v_pack_b32_f16 v27, v45, v46
	v_pack_b32_f16 v24, v50, v24
	ds_write_b32 v70, v16 offset:144
	v_pack_b32_f16 v16, v20, v44
	v_pack_b32_f16 v19, v51, v25
	v_add_f16_e32 v26, v26, v29
	ds_write2_b32 v70, v27, v24 offset1:18
	ds_write2_b32 v71, v16, v19 offset1:18
	v_pack_b32_f16 v16, v17, v21
	ds_write_b32 v71, v16 offset:144
	v_pack_b32_f16 v16, v22, v26
	v_pack_b32_f16 v17, v47, v28
	ds_write2_b32 v72, v16, v17 offset1:18
	v_pack_b32_f16 v16, v18, v23
	ds_write_b32 v72, v16 offset:144
	s_waitcnt lgkmcnt(0)
	s_barrier
	ds_read2_b32 v[16:17], v8 offset1:126
	ds_read2_b32 v[18:19], v49 offset0:124 offset1:250
	ds_read2_b32 v[20:21], v9 offset0:116 offset1:242
	;; [unrolled: 1-line block ×3, first 2 shown]
	ds_read_b32 v28, v8 offset:4032
	s_waitcnt lgkmcnt(4)
	v_lshrrev_b32_e32 v24, 16, v16
	s_waitcnt lgkmcnt(3)
	v_lshrrev_b32_e32 v25, 16, v19
	v_mul_f16_sdwa v49, v36, v25 dst_sel:DWORD dst_unused:UNUSED_PAD src0_sel:WORD_1 src1_sel:DWORD
	s_waitcnt lgkmcnt(2)
	v_lshrrev_b32_e32 v26, 16, v20
	v_fma_f16 v49, v36, v19, v49
	v_mul_f16_sdwa v19, v36, v19 dst_sel:DWORD dst_unused:UNUSED_PAD src0_sel:WORD_1 src1_sel:DWORD
	v_fma_f16 v19, v36, v25, -v19
	v_mul_f16_sdwa v25, v37, v26 dst_sel:DWORD dst_unused:UNUSED_PAD src0_sel:WORD_1 src1_sel:DWORD
	s_waitcnt lgkmcnt(1)
	v_lshrrev_b32_e32 v29, 16, v22
	v_fma_f16 v25, v37, v20, v25
	v_mul_f16_sdwa v20, v37, v20 dst_sel:DWORD dst_unused:UNUSED_PAD src0_sel:WORD_1 src1_sel:DWORD
	v_fma_f16 v20, v37, v26, -v20
	v_mul_f16_sdwa v26, v34, v29 dst_sel:DWORD dst_unused:UNUSED_PAD src0_sel:WORD_1 src1_sel:DWORD
	v_lshrrev_b32_e32 v46, 16, v23
	v_fma_f16 v26, v34, v22, v26
	v_mul_f16_sdwa v22, v34, v22 dst_sel:DWORD dst_unused:UNUSED_PAD src0_sel:WORD_1 src1_sel:DWORD
	v_lshrrev_b32_e32 v44, 16, v21
	v_fma_f16 v22, v34, v29, -v22
	v_mul_f16_sdwa v34, v32, v46 dst_sel:DWORD dst_unused:UNUSED_PAD src0_sel:WORD_1 src1_sel:DWORD
	s_waitcnt lgkmcnt(0)
	v_lshrrev_b32_e32 v47, 16, v28
	v_mul_f16_sdwa v29, v35, v44 dst_sel:DWORD dst_unused:UNUSED_PAD src0_sel:WORD_1 src1_sel:DWORD
	v_fma_f16 v34, v32, v23, v34
	v_mul_f16_sdwa v23, v32, v23 dst_sel:DWORD dst_unused:UNUSED_PAD src0_sel:WORD_1 src1_sel:DWORD
	v_fma_f16 v29, v35, v21, v29
	v_mul_f16_sdwa v21, v35, v21 dst_sel:DWORD dst_unused:UNUSED_PAD src0_sel:WORD_1 src1_sel:DWORD
	v_fma_f16 v23, v32, v46, -v23
	v_mul_f16_sdwa v32, v33, v47 dst_sel:DWORD dst_unused:UNUSED_PAD src0_sel:WORD_1 src1_sel:DWORD
	v_fma_f16 v21, v35, v44, -v21
	v_fma_f16 v32, v33, v28, v32
	v_mul_f16_sdwa v28, v33, v28 dst_sel:DWORD dst_unused:UNUSED_PAD src0_sel:WORD_1 src1_sel:DWORD
	v_add_f16_e32 v35, v49, v25
	v_fma_f16 v28, v33, v47, -v28
	v_add_f16_e32 v33, v16, v49
	v_fma_f16 v16, v35, -0.5, v16
	v_sub_f16_e32 v35, v19, v20
	v_fma_f16 v36, v35, s0, v16
	v_fma_f16 v35, v35, s1, v16
	v_add_f16_e32 v16, v24, v19
	v_add_f16_e32 v37, v16, v20
	;; [unrolled: 1-line block ×3, first 2 shown]
	v_fma_f16 v16, v16, -0.5, v24
	v_sub_f16_e32 v19, v49, v25
	v_fma_f16 v20, v19, s1, v16
	v_fma_f16 v19, v19, s0, v16
	v_add_f16_e32 v16, v17, v26
	v_add_f16_e32 v44, v16, v29
	v_add_f16_e32 v16, v26, v29
	v_lshrrev_b32_e32 v27, 16, v17
	v_fma_f16 v16, v16, -0.5, v17
	v_sub_f16_e32 v17, v22, v21
	v_fma_f16 v46, v17, s0, v16
	v_fma_f16 v47, v17, s1, v16
	v_add_f16_e32 v16, v27, v22
	v_add_f16_e32 v49, v16, v21
	;; [unrolled: 1-line block ×3, first 2 shown]
	v_fma_f16 v16, v16, -0.5, v27
	v_sub_f16_e32 v17, v26, v29
	v_fma_f16 v21, v17, s1, v16
	v_fma_f16 v22, v17, s0, v16
	v_add_f16_e32 v16, v18, v34
	v_add_f16_e32 v26, v16, v32
	;; [unrolled: 1-line block ×3, first 2 shown]
	v_lshrrev_b32_e32 v45, 16, v18
	v_fma_f16 v17, v16, -0.5, v18
	v_sub_f16_e32 v18, v23, v28
	v_fma_f16 v16, v18, s0, v17
	v_fma_f16 v17, v18, s1, v17
	v_add_f16_e32 v18, v45, v23
	v_add_f16_e32 v23, v23, v28
	;; [unrolled: 1-line block ×3, first 2 shown]
	v_fma_f16 v23, v23, -0.5, v45
	v_sub_f16_e32 v25, v34, v32
	v_fma_f16 v24, v25, s1, v23
	v_fma_f16 v25, v25, s0, v23
	v_pack_b32_f16 v23, v33, v37
	v_pack_b32_f16 v20, v36, v20
	;; [unrolled: 1-line block ×3, first 2 shown]
	s_barrier
	ds_write2_b32 v73, v23, v20 offset1:54
	ds_write_b32 v73, v19 offset:432
	v_pack_b32_f16 v19, v44, v49
	v_pack_b32_f16 v20, v46, v21
	v_add_f16_e32 v18, v18, v28
	ds_write2_b32 v74, v19, v20 offset1:54
	v_pack_b32_f16 v19, v47, v22
	ds_write_b32 v74, v19 offset:432
	v_pack_b32_f16 v18, v26, v18
	v_pack_b32_f16 v19, v16, v24
	ds_write2_b32 v75, v18, v19 offset1:54
	v_pack_b32_f16 v18, v17, v25
	v_add_u32_e32 v26, 0x400, v8
	ds_write_b32 v75, v18 offset:432
	s_waitcnt lgkmcnt(0)
	s_barrier
	ds_read2_b32 v[18:19], v8 offset1:162
	ds_read2_b32 v[22:23], v26 offset0:68 offset1:230
	ds_read2_b32 v[20:21], v9 offset0:8 offset1:170
	ds_read_b32 v27, v8 offset:3888
	s_and_saveexec_b64 s[0:1], s[2:3]
	s_cbranch_execz .LBB0_19
; %bb.18:
	v_add_u32_e32 v16, 0x100, v8
	ds_read2_b32 v[16:17], v16 offset0:62 offset1:224
	ds_read2_b32 v[40:41], v13 offset0:66 offset1:228
	v_add_u32_e32 v13, 0xc00, v8
	ds_read2_b32 v[42:43], v13 offset0:6 offset1:168
	ds_read_b32 v77, v8 offset:4392
	s_waitcnt lgkmcnt(3)
	v_lshrrev_b32_e32 v24, 16, v16
	v_lshrrev_b32_e32 v25, 16, v17
	s_waitcnt lgkmcnt(2)
	v_lshrrev_b32_e32 v48, 16, v40
	v_lshrrev_b32_e32 v53, 16, v41
	;; [unrolled: 3-line block ×3, first 2 shown]
	s_waitcnt lgkmcnt(0)
	v_lshrrev_b32_e32 v78, 16, v77
.LBB0_19:
	s_or_b64 exec, exec, s[0:1]
	s_waitcnt lgkmcnt(3)
	v_lshrrev_b32_e32 v13, 16, v19
	v_mul_f16_sdwa v35, v4, v13 dst_sel:DWORD dst_unused:UNUSED_PAD src0_sel:WORD_1 src1_sel:DWORD
	s_waitcnt lgkmcnt(2)
	v_lshrrev_b32_e32 v28, 16, v22
	v_fma_f16 v35, v4, v19, v35
	v_mul_f16_sdwa v19, v4, v19 dst_sel:DWORD dst_unused:UNUSED_PAD src0_sel:WORD_1 src1_sel:DWORD
	v_lshrrev_b32_e32 v29, 16, v23
	v_fma_f16 v4, v4, v13, -v19
	v_mul_f16_sdwa v13, v5, v28 dst_sel:DWORD dst_unused:UNUSED_PAD src0_sel:WORD_1 src1_sel:DWORD
	v_mul_f16_sdwa v19, v5, v22 dst_sel:DWORD dst_unused:UNUSED_PAD src0_sel:WORD_1 src1_sel:DWORD
	s_waitcnt lgkmcnt(1)
	v_lshrrev_b32_e32 v32, 16, v20
	v_fma_f16 v13, v5, v22, v13
	v_fma_f16 v5, v5, v28, -v19
	v_mul_f16_sdwa v19, v6, v29 dst_sel:DWORD dst_unused:UNUSED_PAD src0_sel:WORD_1 src1_sel:DWORD
	v_mul_f16_sdwa v22, v6, v23 dst_sel:DWORD dst_unused:UNUSED_PAD src0_sel:WORD_1 src1_sel:DWORD
	v_fma_f16 v19, v6, v23, v19
	v_fma_f16 v6, v6, v29, -v22
	v_mul_f16_sdwa v22, v7, v32 dst_sel:DWORD dst_unused:UNUSED_PAD src0_sel:WORD_1 src1_sel:DWORD
	v_lshrrev_b32_e32 v33, 16, v21
	s_waitcnt lgkmcnt(0)
	v_lshrrev_b32_e32 v34, 16, v27
	v_fma_f16 v22, v7, v20, v22
	v_mul_f16_sdwa v20, v7, v20 dst_sel:DWORD dst_unused:UNUSED_PAD src0_sel:WORD_1 src1_sel:DWORD
	v_fma_f16 v7, v7, v32, -v20
	v_mul_f16_sdwa v20, v38, v33 dst_sel:DWORD dst_unused:UNUSED_PAD src0_sel:WORD_1 src1_sel:DWORD
	v_mul_f16_sdwa v23, v39, v34 dst_sel:DWORD dst_unused:UNUSED_PAD src0_sel:WORD_1 src1_sel:DWORD
	v_fma_f16 v20, v38, v21, v20
	v_mul_f16_sdwa v21, v38, v21 dst_sel:DWORD dst_unused:UNUSED_PAD src0_sel:WORD_1 src1_sel:DWORD
	v_fma_f16 v23, v39, v27, v23
	v_mul_f16_sdwa v27, v39, v27 dst_sel:DWORD dst_unused:UNUSED_PAD src0_sel:WORD_1 src1_sel:DWORD
	v_fma_f16 v21, v38, v33, -v21
	v_fma_f16 v27, v39, v34, -v27
	v_add_f16_e32 v28, v35, v23
	v_add_f16_e32 v29, v4, v27
	v_sub_f16_e32 v4, v4, v27
	v_add_f16_e32 v27, v13, v20
	v_add_f16_e32 v32, v5, v21
	v_sub_f16_e32 v23, v35, v23
	v_sub_f16_e32 v13, v13, v20
	;; [unrolled: 1-line block ×3, first 2 shown]
	v_add_f16_e32 v20, v19, v22
	v_add_f16_e32 v21, v6, v7
	v_sub_f16_e32 v19, v22, v19
	v_sub_f16_e32 v6, v7, v6
	v_add_f16_e32 v7, v27, v28
	v_add_f16_e32 v22, v32, v29
	v_sub_f16_e32 v33, v27, v28
	v_sub_f16_e32 v34, v32, v29
	;; [unrolled: 1-line block ×6, first 2 shown]
	v_add_f16_e32 v35, v19, v13
	v_add_f16_e32 v36, v6, v5
	v_sub_f16_e32 v37, v19, v13
	v_sub_f16_e32 v38, v6, v5
	;; [unrolled: 1-line block ×4, first 2 shown]
	v_add_f16_e32 v7, v20, v7
	v_add_f16_e32 v20, v21, v22
	v_sub_f16_e32 v19, v23, v19
	v_sub_f16_e32 v6, v4, v6
	v_add_f16_e32 v21, v35, v23
	v_add_f16_e32 v4, v36, v4
	;; [unrolled: 1-line block ×3, first 2 shown]
	v_add_f16_sdwa v18, v18, v20 dst_sel:DWORD dst_unused:UNUSED_PAD src0_sel:WORD_1 src1_sel:DWORD
	v_mul_f16_e32 v23, 0x3a52, v28
	v_mul_f16_e32 v28, 0x3a52, v29
	s_movk_i32 s17, 0x2b26
	v_mul_f16_e32 v29, 0x2b26, v27
	v_mul_f16_e32 v35, 0x2b26, v32
	;; [unrolled: 1-line block ×4, first 2 shown]
	s_mov_b32 s6, 0xbb00
	v_mul_f16_e32 v38, 0xbb00, v13
	v_mul_f16_e32 v39, 0xbb00, v5
	s_mov_b32 s18, 0xbcab
	s_mov_b32 s14, 0xb9e0
	;; [unrolled: 1-line block ×3, first 2 shown]
	s_movk_i32 s15, 0x3574
	v_fma_f16 v7, v7, s18, v22
	v_fma_f16 v20, v20, s18, v18
	;; [unrolled: 1-line block ×4, first 2 shown]
	v_fma_f16 v29, v33, s7, -v29
	v_fma_f16 v35, v34, s7, -v35
	;; [unrolled: 1-line block ×4, first 2 shown]
	v_fma_f16 v33, v19, s19, v36
	v_fma_f16 v34, v6, s19, v37
	v_fma_f16 v13, v13, s6, -v36
	v_fma_f16 v5, v5, s6, -v37
	;; [unrolled: 1-line block ×4, first 2 shown]
	s_mov_b32 s16, 0xb70e
	v_add_f16_e32 v27, v27, v7
	v_add_f16_e32 v32, v32, v20
	;; [unrolled: 1-line block ×6, first 2 shown]
	v_fma_f16 v23, v21, s16, v33
	v_fma_f16 v28, v4, s16, v34
	;; [unrolled: 1-line block ×6, first 2 shown]
	v_add_f16_e32 v6, v28, v27
	v_sub_f16_e32 v21, v32, v23
	v_add_f16_e32 v33, v4, v7
	v_sub_f16_e32 v36, v29, v5
	v_add_f16_e32 v37, v13, v35
	v_add_f16_e32 v5, v5, v29
	v_sub_f16_e32 v13, v35, v13
	v_sub_f16_e32 v4, v7, v4
	v_add_f16_e32 v7, v19, v20
	v_sub_f16_e32 v34, v20, v19
	v_sub_f16_e32 v19, v27, v28
	v_add_f16_e32 v20, v23, v32
	v_pack_b32_f16 v18, v22, v18
	v_pack_b32_f16 v6, v6, v21
	;; [unrolled: 1-line block ×4, first 2 shown]
	ds_write2_b32 v8, v18, v6 offset1:162
	v_pack_b32_f16 v6, v33, v34
	v_pack_b32_f16 v18, v36, v37
	ds_write2_b32 v9, v5, v4 offset0:8 offset1:170
	v_pack_b32_f16 v4, v19, v20
	ds_write2_b32 v26, v6, v18 offset0:68 offset1:230
	ds_write_b32 v8, v4 offset:3888
	s_and_saveexec_b64 s[0:1], s[2:3]
	s_cbranch_execz .LBB0_21
; %bb.20:
	v_mul_f16_sdwa v4, v0, v25 dst_sel:DWORD dst_unused:UNUSED_PAD src0_sel:WORD_1 src1_sel:DWORD
	v_fma_f16 v4, v0, v17, v4
	v_mul_f16_sdwa v17, v0, v17 dst_sel:DWORD dst_unused:UNUSED_PAD src0_sel:WORD_1 src1_sel:DWORD
	v_mul_f16_sdwa v9, v2, v53 dst_sel:DWORD dst_unused:UNUSED_PAD src0_sel:WORD_1 src1_sel:DWORD
	v_fma_f16 v0, v0, v25, -v17
	v_mul_f16_sdwa v25, v2, v41 dst_sel:DWORD dst_unused:UNUSED_PAD src0_sel:WORD_1 src1_sel:DWORD
	v_mul_f16_sdwa v7, v3, v76 dst_sel:DWORD dst_unused:UNUSED_PAD src0_sel:WORD_1 src1_sel:DWORD
	v_fma_f16 v9, v2, v41, v9
	v_mul_f16_sdwa v19, v1, v48 dst_sel:DWORD dst_unused:UNUSED_PAD src0_sel:WORD_1 src1_sel:DWORD
	v_mul_f16_sdwa v26, v31, v77 dst_sel:DWORD dst_unused:UNUSED_PAD src0_sel:WORD_1 src1_sel:DWORD
	v_fma_f16 v2, v2, v53, -v25
	v_mul_f16_sdwa v25, v3, v42 dst_sel:DWORD dst_unused:UNUSED_PAD src0_sel:WORD_1 src1_sel:DWORD
	v_mul_f16_sdwa v28, v30, v43 dst_sel:DWORD dst_unused:UNUSED_PAD src0_sel:WORD_1 src1_sel:DWORD
	;; [unrolled: 1-line block ×4, first 2 shown]
	v_fma_f16 v7, v3, v42, v7
	v_fma_f16 v19, v1, v40, v19
	v_mul_f16_sdwa v20, v30, v52 dst_sel:DWORD dst_unused:UNUSED_PAD src0_sel:WORD_1 src1_sel:DWORD
	v_fma_f16 v26, v31, v78, -v26
	v_fma_f16 v3, v3, v76, -v25
	;; [unrolled: 1-line block ×4, first 2 shown]
	v_fma_f16 v5, v31, v77, v5
	v_fma_f16 v20, v30, v43, v20
	v_add_f16_e32 v17, v26, v0
	v_add_f16_e32 v25, v2, v3
	v_add_f16_e32 v29, v28, v1
	v_sub_f16_e32 v0, v0, v26
	v_sub_f16_e32 v2, v3, v2
	;; [unrolled: 1-line block ×6, first 2 shown]
	v_add_f16_e32 v4, v5, v4
	v_add_f16_e32 v5, v9, v7
	;; [unrolled: 1-line block ×3, first 2 shown]
	v_sub_f16_e32 v3, v0, v2
	v_sub_f16_e32 v26, v2, v1
	v_add_f16_e32 v2, v2, v1
	v_sub_f16_e32 v18, v6, v13
	v_sub_f16_e32 v22, v13, v21
	v_add_f16_e32 v13, v13, v21
	v_add_f16_e32 v32, v29, v17
	;; [unrolled: 1-line block ×4, first 2 shown]
	v_sub_f16_e32 v0, v1, v0
	v_add_f16_e32 v13, v13, v6
	v_sub_f16_e32 v27, v17, v25
	v_sub_f16_e32 v30, v25, v29
	v_add_f16_e32 v25, v25, v32
	v_sub_f16_e32 v7, v4, v5
	v_sub_f16_e32 v19, v5, v9
	v_add_f16_e32 v5, v5, v33
	v_mul_f16_e32 v26, 0x3846, v26
	v_sub_f16_e32 v6, v21, v6
	v_mul_f16_e32 v1, 0xbb00, v0
	v_mul_f16_e32 v22, 0x3846, v22
	;; [unrolled: 1-line block ×4, first 2 shown]
	v_add_f16_e32 v24, v24, v25
	v_mul_f16_e32 v7, 0x3a52, v7
	v_mul_f16_e32 v20, 0x2b26, v19
	v_add_f16_e32 v16, v16, v5
	v_fma_f16 v28, v3, s19, v26
	v_mul_f16_e32 v21, 0xbb00, v6
	v_sub_f16_e32 v17, v29, v17
	v_sub_f16_e32 v4, v9, v4
	v_fma_f16 v1, v3, s15, -v1
	v_fma_f16 v0, v0, s6, -v26
	v_fma_f16 v23, v18, s19, v22
	v_fma_f16 v30, v30, s17, v27
	;; [unrolled: 1-line block ×6, first 2 shown]
	v_fma_f16 v18, v18, s15, -v21
	v_fma_f16 v21, v17, s14, -v27
	;; [unrolled: 1-line block ×3, first 2 shown]
	v_fma_f16 v1, v2, s16, v1
	v_fma_f16 v9, v17, s7, -v31
	v_fma_f16 v6, v6, s6, -v22
	v_fma_f16 v0, v2, s16, v0
	v_fma_f16 v2, v4, s7, -v20
	v_fma_f16 v23, v13, s16, v23
	v_add_f16_e32 v30, v30, v25
	v_add_f16_e32 v19, v19, v5
	v_fma_f16 v18, v13, s16, v18
	v_add_f16_e32 v21, v21, v25
	v_add_f16_e32 v7, v7, v5
	;; [unrolled: 1-line block ×3, first 2 shown]
	v_fma_f16 v6, v13, s16, v6
	v_add_f16_e32 v2, v2, v5
	v_sub_f16_e32 v3, v7, v1
	v_sub_f16_e32 v13, v9, v6
	v_add_f16_e32 v4, v0, v2
	v_add_f16_e32 v5, v6, v9
	v_sub_f16_e32 v0, v2, v0
	v_sub_f16_e32 v2, v21, v18
	v_add_f16_e32 v1, v1, v7
	v_sub_f16_e32 v6, v30, v23
	v_add_f16_e32 v7, v28, v19
	v_add_f16_e32 v27, v18, v21
	v_pack_b32_f16 v9, v16, v24
	v_pack_b32_f16 v6, v7, v6
	v_add_u32_e32 v7, 0x100, v8
	v_pack_b32_f16 v1, v1, v2
	v_pack_b32_f16 v0, v0, v5
	v_add_u32_e32 v2, 0x600, v8
	v_add_f16_e32 v32, v23, v30
	v_sub_f16_e32 v33, v19, v28
	ds_write2_b32 v7, v9, v6 offset0:62 offset1:224
	ds_write2_b32 v2, v1, v0 offset0:66 offset1:228
	v_pack_b32_f16 v0, v4, v13
	v_pack_b32_f16 v1, v3, v27
	v_add_u32_e32 v2, 0xc00, v8
	ds_write2_b32 v2, v0, v1 offset0:6 offset1:168
	v_pack_b32_f16 v0, v33, v32
	ds_write_b32 v8, v0 offset:4392
.LBB0_21:
	s_or_b64 exec, exec, s[0:1]
	s_waitcnt lgkmcnt(0)
	s_barrier
	ds_read2_b32 v[0:1], v8 offset1:126
	v_mad_u64_u32 v[6:7], s[0:1], s10, v14, 0
	v_mov_b32_e32 v2, v7
	s_mov_b32 s6, 0x8eac7900
	s_waitcnt lgkmcnt(0)
	v_lshrrev_b32_e32 v9, 16, v0
	v_mul_f16_sdwa v3, v60, v9 dst_sel:DWORD dst_unused:UNUSED_PAD src0_sel:WORD_1 src1_sel:DWORD
	v_fma_f16 v3, v60, v0, v3
	v_cvt_f32_f16_e32 v13, v3
	v_mad_u64_u32 v[2:3], s[0:1], s11, v14, v[2:3]
	v_mov_b32_e32 v7, v2
	v_cvt_f64_f32_e32 v[2:3], v13
	s_mov_b32 s7, 0x3f4ce55c
	v_mul_f64 v[2:3], v[2:3], s[6:7]
	s_movk_i32 s14, 0x1ff
	v_and_or_b32 v2, v3, s14, v2
	v_cmp_ne_u32_e32 vcc, 0, v2
	v_lshrrev_b32_e32 v13, 8, v3
	s_movk_i32 s15, 0xffe
	v_cndmask_b32_e64 v2, 0, 1, vcc
	v_bfe_u32 v14, v3, 20, 11
	v_and_or_b32 v13, v13, s15, v2
	v_sub_u32_e32 v16, 0x3f1, v14
	v_or_b32_e32 v2, 0x1000, v13
	v_med3_i32 v16, v16, 0, 13
	v_lshrrev_b32_e32 v17, v16, v2
	v_lshlrev_b32_e32 v16, v16, v17
	v_cmp_ne_u32_e32 vcc, v16, v2
	v_add_u32_e32 v14, 0xfffffc10, v14
	v_lshl_or_b32 v16, v14, 12, v13
	v_cndmask_b32_e64 v2, 0, 1, vcc
	v_or_b32_e32 v2, v17, v2
	v_cmp_gt_i32_e32 vcc, 1, v14
	v_mul_f16_sdwa v0, v60, v0 dst_sel:DWORD dst_unused:UNUSED_PAD src0_sel:WORD_1 src1_sel:DWORD
	v_fma_f16 v0, v60, v9, -v0
	v_cndmask_b32_e32 v2, v16, v2, vcc
	v_and_b32_e32 v16, 7, v2
	v_cmp_lt_i32_e32 vcc, 5, v16
	v_cmp_eq_u32_e64 s[0:1], 3, v16
	v_lshrrev_b32_e32 v2, 2, v2
	s_or_b64 vcc, s[0:1], vcc
	v_addc_co_u32_e32 v16, vcc, 0, v2, vcc
	v_mov_b32_e32 v2, 0x7c00
	v_cmp_gt_i32_e32 vcc, 31, v14
	v_cvt_f32_f16_e32 v0, v0
	s_movk_i32 s16, 0x40f
	v_cndmask_b32_e32 v16, v2, v16, vcc
	v_cmp_ne_u32_e32 vcc, 0, v13
	s_mov_b32 s17, 0x8000
	v_and_b32_sdwa v3, v3, s17 dst_sel:DWORD dst_unused:UNUSED_PAD src0_sel:WORD_1 src1_sel:DWORD
	v_cndmask_b32_e64 v13, 0, 1, vcc
	v_lshl_or_b32 v13, v13, 9, v2
	v_cmp_eq_u32_e32 vcc, s16, v14
	s_mov_b32 s18, 0xffff
	v_mov_b32_e32 v4, s12
	v_cndmask_b32_e32 v9, v16, v13, vcc
	v_cvt_f64_f32_e32 v[16:17], v0
	v_mul_f64 v[16:17], v[16:17], s[6:7]
	v_and_or_b32 v0, v17, s14, v16
	v_cmp_ne_u32_e32 vcc, 0, v0
	v_lshrrev_b32_e32 v13, 8, v17
	v_bfe_u32 v14, v17, 20, 11
	v_cndmask_b32_e64 v0, 0, 1, vcc
	v_and_or_b32 v0, v13, s15, v0
	v_sub_u32_e32 v16, 0x3f1, v14
	v_or_b32_e32 v13, 0x1000, v0
	v_med3_i32 v16, v16, 0, 13
	v_lshrrev_b32_e32 v18, v16, v13
	v_lshlrev_b32_e32 v16, v16, v18
	v_cmp_ne_u32_e32 vcc, v16, v13
	v_add_u32_e32 v14, 0xfffffc10, v14
	v_lshl_or_b32 v16, v14, 12, v0
	v_cndmask_b32_e64 v13, 0, 1, vcc
	v_or_b32_e32 v13, v18, v13
	v_cmp_gt_i32_e32 vcc, 1, v14
	v_mov_b32_e32 v5, s13
	v_lshl_add_u64 v[4:5], v[6:7], 2, v[4:5]
	v_cndmask_b32_e32 v13, v16, v13, vcc
	v_and_b32_e32 v16, 7, v13
	v_cmp_lt_i32_e32 vcc, 5, v16
	v_cmp_eq_u32_e64 s[0:1], 3, v16
	v_lshrrev_b32_e32 v13, 2, v13
	s_or_b64 vcc, s[0:1], vcc
	v_addc_co_u32_e32 v13, vcc, 0, v13, vcc
	v_cmp_gt_i32_e32 vcc, 31, v14
	s_mul_i32 s10, s8, 0x237
	s_mul_i32 s2, s8, 0xfffffe47
	v_cndmask_b32_e32 v13, v2, v13, vcc
	v_cmp_ne_u32_e32 vcc, 0, v0
	s_movk_i32 s19, 0x1000
	s_nop 0
	v_cndmask_b32_e64 v0, 0, 1, vcc
	v_lshl_or_b32 v0, v0, 9, v2
	v_cmp_eq_u32_e32 vcc, s16, v14
	s_nop 1
	v_cndmask_b32_e32 v0, v13, v0, vcc
	v_lshrrev_b32_e32 v13, 16, v17
	v_mad_u64_u32 v[16:17], s[0:1], s8, v12, 0
	v_and_or_b32 v14, v13, s17, v0
	v_mov_b32_e32 v0, v17
	v_mad_u64_u32 v[12:13], s[0:1], s9, v12, v[0:1]
	v_add_u32_e32 v0, 0x800, v8
	ds_read2_b32 v[18:19], v0 offset0:55 offset1:181
	v_bitop3_b32 v0, v3, s18, v9 bitop3:0xc8
	v_mov_b32_e32 v17, v12
	v_lshl_or_b32 v0, v14, 16, v0
	v_lshl_add_u64 v[4:5], v[16:17], 2, v[4:5]
	s_waitcnt lgkmcnt(0)
	v_lshrrev_b32_e32 v3, 16, v18
	v_mul_f16_sdwa v9, v59, v3 dst_sel:DWORD dst_unused:UNUSED_PAD src0_sel:WORD_1 src1_sel:DWORD
	v_fma_f16 v9, v59, v18, v9
	v_cvt_f32_f16_e32 v9, v9
	global_store_dword v[4:5], v0, off
	v_cvt_f64_f32_e32 v[6:7], v9
	v_mul_f64 v[6:7], v[6:7], s[6:7]
	v_and_or_b32 v0, v7, s14, v6
	v_cmp_ne_u32_e32 vcc, 0, v0
	v_lshrrev_b32_e32 v6, 8, v7
	v_bfe_u32 v9, v7, 20, 11
	v_cndmask_b32_e64 v0, 0, 1, vcc
	v_and_or_b32 v0, v6, s15, v0
	v_sub_u32_e32 v12, 0x3f1, v9
	v_or_b32_e32 v6, 0x1000, v0
	v_med3_i32 v12, v12, 0, 13
	v_lshrrev_b32_e32 v13, v12, v6
	v_lshlrev_b32_e32 v12, v12, v13
	v_cmp_ne_u32_e32 vcc, v12, v6
	v_add_u32_e32 v9, 0xfffffc10, v9
	v_lshl_or_b32 v12, v9, 12, v0
	v_cndmask_b32_e64 v6, 0, 1, vcc
	v_or_b32_e32 v6, v13, v6
	v_cmp_gt_i32_e32 vcc, 1, v9
	s_nop 1
	v_cndmask_b32_e32 v6, v12, v6, vcc
	v_and_b32_e32 v12, 7, v6
	v_cmp_lt_i32_e32 vcc, 5, v12
	v_cmp_eq_u32_e64 s[0:1], 3, v12
	v_lshrrev_b32_e32 v6, 2, v6
	s_or_b64 vcc, s[0:1], vcc
	v_mul_f16_sdwa v12, v59, v18 dst_sel:DWORD dst_unused:UNUSED_PAD src0_sel:WORD_1 src1_sel:DWORD
	v_addc_co_u32_e32 v6, vcc, 0, v6, vcc
	v_fma_f16 v3, v59, v3, -v12
	v_cmp_gt_i32_e32 vcc, 31, v9
	v_cvt_f32_f16_e32 v3, v3
	s_nop 0
	v_cndmask_b32_e32 v6, v2, v6, vcc
	v_cmp_ne_u32_e32 vcc, 0, v0
	s_nop 1
	v_cndmask_b32_e64 v0, 0, 1, vcc
	v_lshl_or_b32 v0, v0, 9, v2
	v_cmp_eq_u32_e32 vcc, s16, v9
	v_and_b32_sdwa v9, v7, s17 dst_sel:DWORD dst_unused:UNUSED_PAD src0_sel:WORD_1 src1_sel:DWORD
	s_nop 0
	v_cndmask_b32_e32 v0, v6, v0, vcc
	v_cvt_f64_f32_e32 v[6:7], v3
	v_mul_f64 v[6:7], v[6:7], s[6:7]
	v_and_or_b32 v3, v7, s14, v6
	v_cmp_ne_u32_e32 vcc, 0, v3
	v_lshrrev_b32_e32 v6, 8, v7
	v_bfe_u32 v12, v7, 20, 11
	v_cndmask_b32_e64 v3, 0, 1, vcc
	v_and_or_b32 v3, v6, s15, v3
	v_sub_u32_e32 v13, 0x3f1, v12
	v_or_b32_e32 v6, 0x1000, v3
	v_med3_i32 v13, v13, 0, 13
	v_lshrrev_b32_e32 v14, v13, v6
	v_lshlrev_b32_e32 v13, v13, v14
	v_cmp_ne_u32_e32 vcc, v13, v6
	v_add_u32_e32 v12, 0xfffffc10, v12
	v_lshl_or_b32 v13, v12, 12, v3
	v_cndmask_b32_e64 v6, 0, 1, vcc
	v_or_b32_e32 v6, v14, v6
	v_cmp_gt_i32_e32 vcc, 1, v12
	v_bitop3_b32 v0, v9, s18, v0 bitop3:0xc8
	s_nop 0
	v_cndmask_b32_e32 v6, v13, v6, vcc
	v_and_b32_e32 v13, 7, v6
	v_cmp_lt_i32_e32 vcc, 5, v13
	v_cmp_eq_u32_e64 s[0:1], 3, v13
	v_lshrrev_b32_e32 v6, 2, v6
	s_or_b64 vcc, s[0:1], vcc
	v_addc_co_u32_e32 v6, vcc, 0, v6, vcc
	v_cmp_gt_i32_e32 vcc, 31, v12
	s_mul_i32 s0, s9, 0x237
	s_mul_hi_u32 s1, s8, 0x237
	v_cndmask_b32_e32 v6, v2, v6, vcc
	v_cmp_ne_u32_e32 vcc, 0, v3
	s_add_i32 s11, s1, s0
	s_lshl_b64 s[12:13], s[10:11], 2
	v_cndmask_b32_e64 v3, 0, 1, vcc
	v_lshl_or_b32 v3, v3, 9, v2
	v_cmp_eq_u32_e32 vcc, s16, v12
	v_lshl_add_u64 v[4:5], v[4:5], 0, s[12:13]
	s_nop 0
	v_cndmask_b32_e32 v3, v6, v3, vcc
	v_lshrrev_b32_e32 v6, 16, v7
	v_and_or_b32 v3, v6, s17, v3
	v_lshl_or_b32 v0, v3, 16, v0
	v_lshrrev_b32_e32 v3, 16, v1
	v_mul_f16_sdwa v6, v58, v3 dst_sel:DWORD dst_unused:UNUSED_PAD src0_sel:WORD_1 src1_sel:DWORD
	v_fma_f16 v6, v58, v1, v6
	v_cvt_f32_f16_e32 v6, v6
	global_store_dword v[4:5], v0, off
	v_mul_f16_sdwa v1, v58, v1 dst_sel:DWORD dst_unused:UNUSED_PAD src0_sel:WORD_1 src1_sel:DWORD
	v_fma_f16 v1, v58, v3, -v1
	v_cvt_f64_f32_e32 v[6:7], v6
	v_mul_f64 v[6:7], v[6:7], s[6:7]
	v_and_or_b32 v0, v7, s14, v6
	v_cmp_ne_u32_e32 vcc, 0, v0
	v_lshrrev_b32_e32 v6, 8, v7
	v_bfe_u32 v9, v7, 20, 11
	v_cndmask_b32_e64 v0, 0, 1, vcc
	v_and_or_b32 v0, v6, s15, v0
	v_sub_u32_e32 v12, 0x3f1, v9
	v_or_b32_e32 v6, 0x1000, v0
	v_med3_i32 v12, v12, 0, 13
	v_lshrrev_b32_e32 v13, v12, v6
	v_lshlrev_b32_e32 v12, v12, v13
	v_cmp_ne_u32_e32 vcc, v12, v6
	v_add_u32_e32 v9, 0xfffffc10, v9
	v_lshl_or_b32 v12, v9, 12, v0
	v_cndmask_b32_e64 v6, 0, 1, vcc
	v_or_b32_e32 v6, v13, v6
	v_cmp_gt_i32_e32 vcc, 1, v9
	v_cvt_f32_f16_e32 v1, v1
	s_nop 0
	v_cndmask_b32_e32 v6, v12, v6, vcc
	v_and_b32_e32 v12, 7, v6
	v_cmp_lt_i32_e32 vcc, 5, v12
	v_cmp_eq_u32_e64 s[0:1], 3, v12
	v_lshrrev_b32_e32 v6, 2, v6
	s_or_b64 vcc, s[0:1], vcc
	v_addc_co_u32_e32 v6, vcc, 0, v6, vcc
	v_cmp_gt_i32_e32 vcc, 31, v9
	s_nop 1
	v_cndmask_b32_e32 v6, v2, v6, vcc
	v_cmp_ne_u32_e32 vcc, 0, v0
	s_nop 1
	v_cndmask_b32_e64 v0, 0, 1, vcc
	v_lshl_or_b32 v0, v0, 9, v2
	v_cmp_eq_u32_e32 vcc, s16, v9
	s_nop 1
	v_cndmask_b32_e32 v3, v6, v0, vcc
	v_cvt_f64_f32_e32 v[0:1], v1
	v_mul_f64 v[0:1], v[0:1], s[6:7]
	v_and_or_b32 v0, v1, s14, v0
	v_cmp_ne_u32_e32 vcc, 0, v0
	v_and_b32_sdwa v6, v7, s17 dst_sel:DWORD dst_unused:UNUSED_PAD src0_sel:WORD_1 src1_sel:DWORD
	v_lshrrev_b32_e32 v7, 8, v1
	v_cndmask_b32_e64 v0, 0, 1, vcc
	v_bfe_u32 v9, v1, 20, 11
	v_and_or_b32 v0, v7, s15, v0
	v_sub_u32_e32 v12, 0x3f1, v9
	v_or_b32_e32 v7, 0x1000, v0
	v_med3_i32 v12, v12, 0, 13
	v_lshrrev_b32_e32 v13, v12, v7
	v_lshlrev_b32_e32 v12, v12, v13
	v_cmp_ne_u32_e32 vcc, v12, v7
	v_add_u32_e32 v9, 0xfffffc10, v9
	v_lshl_or_b32 v12, v9, 12, v0
	v_cndmask_b32_e64 v7, 0, 1, vcc
	v_or_b32_e32 v7, v13, v7
	v_cmp_gt_i32_e32 vcc, 1, v9
	v_lshrrev_b32_e32 v1, 16, v1
	s_nop 0
	v_cndmask_b32_e32 v7, v12, v7, vcc
	v_and_b32_e32 v12, 7, v7
	v_cmp_lt_i32_e32 vcc, 5, v12
	v_cmp_eq_u32_e64 s[0:1], 3, v12
	v_lshrrev_b32_e32 v7, 2, v7
	s_or_b64 vcc, s[0:1], vcc
	v_addc_co_u32_e32 v7, vcc, 0, v7, vcc
	v_cmp_gt_i32_e32 vcc, 31, v9
	s_mul_hi_u32 s1, s8, 0xfffffe47
	s_mul_i32 s0, s9, 0xfffffe47
	v_cndmask_b32_e32 v7, v2, v7, vcc
	v_cmp_ne_u32_e32 vcc, 0, v0
	s_sub_i32 s1, s1, s8
	s_add_i32 s3, s1, s0
	v_cndmask_b32_e64 v0, 0, 1, vcc
	v_lshl_or_b32 v0, v0, 9, v2
	v_cmp_eq_u32_e32 vcc, s16, v9
	s_lshl_b64 s[8:9], s[2:3], 2
	s_nop 0
	v_cndmask_b32_e32 v0, v7, v0, vcc
	v_and_or_b32 v0, v1, s17, v0
	v_bitop3_b32 v1, v6, s18, v3 bitop3:0xc8
	v_lshrrev_b32_e32 v6, 16, v19
	v_lshl_or_b32 v3, v0, 16, v1
	v_mul_f16_sdwa v0, v57, v6 dst_sel:DWORD dst_unused:UNUSED_PAD src0_sel:WORD_1 src1_sel:DWORD
	v_fma_f16 v0, v57, v19, v0
	v_cvt_f32_f16_e32 v7, v0
	v_lshl_add_u64 v[0:1], v[4:5], 0, s[8:9]
	global_store_dword v[0:1], v3, off
	v_lshl_add_u64 v[0:1], v[0:1], 0, s[12:13]
	v_cvt_f64_f32_e32 v[4:5], v7
	v_mul_f64 v[4:5], v[4:5], s[6:7]
	v_and_or_b32 v3, v5, s14, v4
	v_cmp_ne_u32_e32 vcc, 0, v3
	v_lshrrev_b32_e32 v4, 8, v5
	v_bfe_u32 v7, v5, 20, 11
	v_cndmask_b32_e64 v3, 0, 1, vcc
	v_and_or_b32 v3, v4, s15, v3
	v_sub_u32_e32 v9, 0x3f1, v7
	v_or_b32_e32 v4, 0x1000, v3
	v_med3_i32 v9, v9, 0, 13
	v_lshrrev_b32_e32 v12, v9, v4
	v_lshlrev_b32_e32 v9, v9, v12
	v_cmp_ne_u32_e32 vcc, v9, v4
	v_add_u32_e32 v7, 0xfffffc10, v7
	v_lshl_or_b32 v9, v7, 12, v3
	v_cndmask_b32_e64 v4, 0, 1, vcc
	v_or_b32_e32 v4, v12, v4
	v_cmp_gt_i32_e32 vcc, 1, v7
	s_nop 1
	v_cndmask_b32_e32 v4, v9, v4, vcc
	v_and_b32_e32 v9, 7, v4
	v_cmp_lt_i32_e32 vcc, 5, v9
	v_cmp_eq_u32_e64 s[0:1], 3, v9
	v_lshrrev_b32_e32 v4, 2, v4
	s_or_b64 vcc, s[0:1], vcc
	v_mul_f16_sdwa v9, v57, v19 dst_sel:DWORD dst_unused:UNUSED_PAD src0_sel:WORD_1 src1_sel:DWORD
	v_addc_co_u32_e32 v4, vcc, 0, v4, vcc
	v_fma_f16 v6, v57, v6, -v9
	v_cmp_gt_i32_e32 vcc, 31, v7
	v_cvt_f32_f16_e32 v6, v6
	v_and_b32_sdwa v9, v5, s17 dst_sel:DWORD dst_unused:UNUSED_PAD src0_sel:WORD_1 src1_sel:DWORD
	v_cndmask_b32_e32 v4, v2, v4, vcc
	v_cmp_ne_u32_e32 vcc, 0, v3
	s_nop 1
	v_cndmask_b32_e64 v3, 0, 1, vcc
	v_lshl_or_b32 v3, v3, 9, v2
	v_cmp_eq_u32_e32 vcc, s16, v7
	s_nop 1
	v_cndmask_b32_e32 v3, v4, v3, vcc
	v_cvt_f64_f32_e32 v[4:5], v6
	v_mul_f64 v[4:5], v[4:5], s[6:7]
	v_and_or_b32 v4, v5, s14, v4
	v_cmp_ne_u32_e32 vcc, 0, v4
	v_lshrrev_b32_e32 v6, 8, v5
	v_bfe_u32 v7, v5, 20, 11
	v_cndmask_b32_e64 v4, 0, 1, vcc
	v_and_or_b32 v4, v6, s15, v4
	v_sub_u32_e32 v12, 0x3f1, v7
	v_or_b32_e32 v6, 0x1000, v4
	v_med3_i32 v12, v12, 0, 13
	v_lshrrev_b32_e32 v13, v12, v6
	v_lshlrev_b32_e32 v12, v12, v13
	v_cmp_ne_u32_e32 vcc, v12, v6
	v_add_u32_e32 v12, 0xfffffc10, v7
	v_lshl_or_b32 v7, v12, 12, v4
	v_cndmask_b32_e64 v6, 0, 1, vcc
	v_or_b32_e32 v6, v13, v6
	v_cmp_gt_i32_e32 vcc, 1, v12
	v_lshrrev_b32_e32 v5, 16, v5
	v_bitop3_b32 v3, v9, s18, v3 bitop3:0xc8
	v_cndmask_b32_e32 v6, v7, v6, vcc
	v_and_b32_e32 v7, 7, v6
	v_cmp_lt_i32_e32 vcc, 5, v7
	v_cmp_eq_u32_e64 s[0:1], 3, v7
	v_lshrrev_b32_e32 v6, 2, v6
	s_or_b64 vcc, s[0:1], vcc
	v_addc_co_u32_e32 v6, vcc, 0, v6, vcc
	v_cmp_gt_i32_e32 vcc, 31, v12
	s_nop 1
	v_cndmask_b32_e32 v13, v2, v6, vcc
	v_add_u32_e32 v6, 0x200, v8
	ds_read2_b32 v[6:7], v6 offset0:124 offset1:250
	v_cmp_ne_u32_e32 vcc, 0, v4
	s_waitcnt lgkmcnt(0)
	v_lshrrev_b32_e32 v9, 16, v6
	v_cndmask_b32_e64 v4, 0, 1, vcc
	v_lshl_or_b32 v4, v4, 9, v2
	v_cmp_eq_u32_e32 vcc, s16, v12
	s_nop 1
	v_cndmask_b32_e32 v4, v13, v4, vcc
	v_and_or_b32 v4, v5, s17, v4
	v_mul_f16_sdwa v5, v56, v9 dst_sel:DWORD dst_unused:UNUSED_PAD src0_sel:WORD_1 src1_sel:DWORD
	v_fma_f16 v5, v56, v6, v5
	v_cvt_f32_f16_e32 v5, v5
	v_lshl_or_b32 v3, v4, 16, v3
	global_store_dword v[0:1], v3, off
	v_mul_f16_sdwa v6, v56, v6 dst_sel:DWORD dst_unused:UNUSED_PAD src0_sel:WORD_1 src1_sel:DWORD
	v_cvt_f64_f32_e32 v[4:5], v5
	v_mul_f64 v[4:5], v[4:5], s[6:7]
	v_and_or_b32 v3, v5, s14, v4
	v_cmp_ne_u32_e32 vcc, 0, v3
	v_lshrrev_b32_e32 v4, 8, v5
	v_bfe_u32 v12, v5, 20, 11
	v_cndmask_b32_e64 v3, 0, 1, vcc
	v_and_or_b32 v3, v4, s15, v3
	v_sub_u32_e32 v13, 0x3f1, v12
	v_or_b32_e32 v4, 0x1000, v3
	v_med3_i32 v13, v13, 0, 13
	v_lshrrev_b32_e32 v14, v13, v4
	v_lshlrev_b32_e32 v13, v13, v14
	v_cmp_ne_u32_e32 vcc, v13, v4
	v_add_u32_e32 v12, 0xfffffc10, v12
	v_lshl_or_b32 v13, v12, 12, v3
	v_cndmask_b32_e64 v4, 0, 1, vcc
	v_or_b32_e32 v4, v14, v4
	v_cmp_gt_i32_e32 vcc, 1, v12
	v_fma_f16 v6, v56, v9, -v6
	v_cvt_f32_f16_e32 v6, v6
	v_cndmask_b32_e32 v4, v13, v4, vcc
	v_and_b32_e32 v13, 7, v4
	v_cmp_lt_i32_e32 vcc, 5, v13
	v_cmp_eq_u32_e64 s[0:1], 3, v13
	v_lshrrev_b32_e32 v4, 2, v4
	s_or_b64 vcc, s[0:1], vcc
	v_addc_co_u32_e32 v4, vcc, 0, v4, vcc
	v_cmp_gt_i32_e32 vcc, 31, v12
	v_and_b32_sdwa v9, v5, s17 dst_sel:DWORD dst_unused:UNUSED_PAD src0_sel:WORD_1 src1_sel:DWORD
	v_lshl_add_u64 v[0:1], v[0:1], 0, s[8:9]
	v_cndmask_b32_e32 v4, v2, v4, vcc
	v_cmp_ne_u32_e32 vcc, 0, v3
	s_nop 1
	v_cndmask_b32_e64 v3, 0, 1, vcc
	v_lshl_or_b32 v3, v3, 9, v2
	v_cmp_eq_u32_e32 vcc, s16, v12
	s_nop 1
	v_cndmask_b32_e32 v3, v4, v3, vcc
	v_cvt_f64_f32_e32 v[4:5], v6
	v_mul_f64 v[4:5], v[4:5], s[6:7]
	v_and_or_b32 v4, v5, s14, v4
	v_cmp_ne_u32_e32 vcc, 0, v4
	v_lshrrev_b32_e32 v6, 8, v5
	v_bfe_u32 v12, v5, 20, 11
	v_cndmask_b32_e64 v4, 0, 1, vcc
	v_and_or_b32 v4, v6, s15, v4
	v_sub_u32_e32 v13, 0x3f1, v12
	v_or_b32_e32 v6, 0x1000, v4
	v_med3_i32 v13, v13, 0, 13
	v_lshrrev_b32_e32 v14, v13, v6
	v_lshlrev_b32_e32 v13, v13, v14
	v_cmp_ne_u32_e32 vcc, v13, v6
	v_lshrrev_b32_e32 v5, 16, v5
	v_bitop3_b32 v3, v9, s18, v3 bitop3:0xc8
	v_cndmask_b32_e64 v6, 0, 1, vcc
	v_or_b32_e32 v6, v14, v6
	v_add_u32_e32 v14, 0xfffffc10, v12
	v_lshl_or_b32 v12, v14, 12, v4
	v_cmp_gt_i32_e32 vcc, 1, v14
	s_nop 1
	v_cndmask_b32_e32 v6, v12, v6, vcc
	v_and_b32_e32 v12, 7, v6
	v_cmp_lt_i32_e32 vcc, 5, v12
	v_cmp_eq_u32_e64 s[0:1], 3, v12
	v_lshrrev_b32_e32 v6, 2, v6
	s_or_b64 vcc, s[0:1], vcc
	v_add_u32_e32 v12, 0xc00, v8
	v_addc_co_u32_e32 v6, vcc, 0, v6, vcc
	ds_read2_b32 v[12:13], v12 offset0:51 offset1:177
	v_cmp_gt_i32_e32 vcc, 31, v14
	s_nop 1
	v_cndmask_b32_e32 v6, v2, v6, vcc
	v_cmp_ne_u32_e32 vcc, 0, v4
	s_nop 1
	v_cndmask_b32_e64 v4, 0, 1, vcc
	v_lshl_or_b32 v4, v4, 9, v2
	v_cmp_eq_u32_e32 vcc, s16, v14
	s_nop 1
	v_cndmask_b32_e32 v4, v6, v4, vcc
	s_waitcnt lgkmcnt(0)
	v_lshrrev_b32_e32 v6, 16, v12
	v_and_or_b32 v4, v5, s17, v4
	v_mul_f16_sdwa v5, v55, v6 dst_sel:DWORD dst_unused:UNUSED_PAD src0_sel:WORD_1 src1_sel:DWORD
	v_fma_f16 v5, v55, v12, v5
	v_cvt_f32_f16_e32 v5, v5
	v_lshl_or_b32 v3, v4, 16, v3
	global_store_dword v[0:1], v3, off
	v_mul_f16_sdwa v12, v55, v12 dst_sel:DWORD dst_unused:UNUSED_PAD src0_sel:WORD_1 src1_sel:DWORD
	v_cvt_f64_f32_e32 v[4:5], v5
	v_mul_f64 v[4:5], v[4:5], s[6:7]
	v_and_or_b32 v3, v5, s14, v4
	v_cmp_ne_u32_e32 vcc, 0, v3
	v_lshrrev_b32_e32 v4, 8, v5
	v_bfe_u32 v9, v5, 20, 11
	v_cndmask_b32_e64 v3, 0, 1, vcc
	v_and_or_b32 v3, v4, s15, v3
	v_sub_u32_e32 v14, 0x3f1, v9
	v_or_b32_e32 v4, 0x1000, v3
	v_med3_i32 v14, v14, 0, 13
	v_lshrrev_b32_e32 v16, v14, v4
	v_lshlrev_b32_e32 v14, v14, v16
	v_cmp_ne_u32_e32 vcc, v14, v4
	v_add_u32_e32 v9, 0xfffffc10, v9
	v_lshl_or_b32 v14, v9, 12, v3
	v_cndmask_b32_e64 v4, 0, 1, vcc
	v_or_b32_e32 v4, v16, v4
	v_cmp_gt_i32_e32 vcc, 1, v9
	v_fma_f16 v6, v55, v6, -v12
	v_cvt_f32_f16_e32 v6, v6
	v_cndmask_b32_e32 v4, v14, v4, vcc
	v_and_b32_e32 v14, 7, v4
	v_cmp_lt_i32_e32 vcc, 5, v14
	v_cmp_eq_u32_e64 s[0:1], 3, v14
	v_lshrrev_b32_e32 v4, 2, v4
	s_or_b64 vcc, s[0:1], vcc
	v_addc_co_u32_e32 v4, vcc, 0, v4, vcc
	v_cmp_gt_i32_e32 vcc, 31, v9
	v_lshl_add_u64 v[0:1], v[0:1], 0, s[12:13]
	s_nop 0
	v_cndmask_b32_e32 v4, v2, v4, vcc
	v_cmp_ne_u32_e32 vcc, 0, v3
	s_nop 1
	v_cndmask_b32_e64 v3, 0, 1, vcc
	v_lshl_or_b32 v3, v3, 9, v2
	v_cmp_eq_u32_e32 vcc, s16, v9
	v_and_b32_sdwa v9, v5, s17 dst_sel:DWORD dst_unused:UNUSED_PAD src0_sel:WORD_1 src1_sel:DWORD
	s_nop 0
	v_cndmask_b32_e32 v3, v4, v3, vcc
	v_cvt_f64_f32_e32 v[4:5], v6
	v_mul_f64 v[4:5], v[4:5], s[6:7]
	v_and_or_b32 v4, v5, s14, v4
	v_cmp_ne_u32_e32 vcc, 0, v4
	v_lshrrev_b32_e32 v6, 8, v5
	v_bfe_u32 v12, v5, 20, 11
	v_cndmask_b32_e64 v4, 0, 1, vcc
	v_and_or_b32 v4, v6, s15, v4
	v_sub_u32_e32 v14, 0x3f1, v12
	v_or_b32_e32 v6, 0x1000, v4
	v_med3_i32 v14, v14, 0, 13
	v_lshrrev_b32_e32 v16, v14, v6
	v_lshlrev_b32_e32 v14, v14, v16
	v_cmp_ne_u32_e32 vcc, v14, v6
	v_add_u32_e32 v12, 0xfffffc10, v12
	v_lshl_or_b32 v14, v12, 12, v4
	v_cndmask_b32_e64 v6, 0, 1, vcc
	v_or_b32_e32 v6, v16, v6
	v_cmp_gt_i32_e32 vcc, 1, v12
	v_lshrrev_b32_e32 v5, 16, v5
	v_bitop3_b32 v3, v9, s18, v3 bitop3:0xc8
	v_cndmask_b32_e32 v6, v14, v6, vcc
	v_and_b32_e32 v14, 7, v6
	v_cmp_lt_i32_e32 vcc, 5, v14
	v_cmp_eq_u32_e64 s[0:1], 3, v14
	v_lshrrev_b32_e32 v6, 2, v6
	s_or_b64 vcc, s[0:1], vcc
	v_addc_co_u32_e32 v6, vcc, 0, v6, vcc
	v_cmp_gt_i32_e32 vcc, 31, v12
	s_nop 1
	v_cndmask_b32_e32 v6, v2, v6, vcc
	v_cmp_ne_u32_e32 vcc, 0, v4
	s_nop 1
	v_cndmask_b32_e64 v4, 0, 1, vcc
	v_lshl_or_b32 v4, v4, 9, v2
	v_cmp_eq_u32_e32 vcc, s16, v12
	s_nop 1
	v_cndmask_b32_e32 v4, v6, v4, vcc
	v_lshrrev_b32_e32 v6, 16, v7
	v_and_or_b32 v4, v5, s17, v4
	v_mul_f16_sdwa v5, v54, v6 dst_sel:DWORD dst_unused:UNUSED_PAD src0_sel:WORD_1 src1_sel:DWORD
	v_fma_f16 v5, v54, v7, v5
	v_cvt_f32_f16_e32 v5, v5
	v_lshl_or_b32 v3, v4, 16, v3
	global_store_dword v[0:1], v3, off
	v_mul_f16_sdwa v7, v54, v7 dst_sel:DWORD dst_unused:UNUSED_PAD src0_sel:WORD_1 src1_sel:DWORD
	v_cvt_f64_f32_e32 v[4:5], v5
	v_mul_f64 v[4:5], v[4:5], s[6:7]
	v_and_or_b32 v3, v5, s14, v4
	v_cmp_ne_u32_e32 vcc, 0, v3
	v_lshrrev_b32_e32 v4, 8, v5
	v_bfe_u32 v9, v5, 20, 11
	v_cndmask_b32_e64 v3, 0, 1, vcc
	v_and_or_b32 v3, v4, s15, v3
	v_sub_u32_e32 v12, 0x3f1, v9
	v_or_b32_e32 v4, 0x1000, v3
	v_med3_i32 v12, v12, 0, 13
	v_lshrrev_b32_e32 v14, v12, v4
	v_lshlrev_b32_e32 v12, v12, v14
	v_cmp_ne_u32_e32 vcc, v12, v4
	v_add_u32_e32 v9, 0xfffffc10, v9
	v_lshl_or_b32 v12, v9, 12, v3
	v_cndmask_b32_e64 v4, 0, 1, vcc
	v_or_b32_e32 v4, v14, v4
	v_cmp_gt_i32_e32 vcc, 1, v9
	v_fma_f16 v6, v54, v6, -v7
	v_cvt_f32_f16_e32 v6, v6
	v_cndmask_b32_e32 v4, v12, v4, vcc
	v_and_b32_e32 v12, 7, v4
	v_cmp_lt_i32_e32 vcc, 5, v12
	v_cmp_eq_u32_e64 s[0:1], 3, v12
	v_lshrrev_b32_e32 v4, 2, v4
	s_or_b64 vcc, s[0:1], vcc
	v_addc_co_u32_e32 v4, vcc, 0, v4, vcc
	v_cmp_gt_i32_e32 vcc, 31, v9
	v_and_b32_sdwa v7, v5, s17 dst_sel:DWORD dst_unused:UNUSED_PAD src0_sel:WORD_1 src1_sel:DWORD
	v_lshl_add_u64 v[0:1], v[0:1], 0, s[8:9]
	v_cndmask_b32_e32 v4, v2, v4, vcc
	v_cmp_ne_u32_e32 vcc, 0, v3
	s_nop 1
	v_cndmask_b32_e64 v3, 0, 1, vcc
	v_lshl_or_b32 v3, v3, 9, v2
	v_cmp_eq_u32_e32 vcc, s16, v9
	s_nop 1
	v_cndmask_b32_e32 v3, v4, v3, vcc
	v_cvt_f64_f32_e32 v[4:5], v6
	v_mul_f64 v[4:5], v[4:5], s[6:7]
	v_and_or_b32 v4, v5, s14, v4
	v_cmp_ne_u32_e32 vcc, 0, v4
	v_lshrrev_b32_e32 v6, 8, v5
	v_bfe_u32 v9, v5, 20, 11
	v_cndmask_b32_e64 v4, 0, 1, vcc
	v_and_or_b32 v4, v6, s15, v4
	v_sub_u32_e32 v12, 0x3f1, v9
	v_or_b32_e32 v6, 0x1000, v4
	v_med3_i32 v12, v12, 0, 13
	v_lshrrev_b32_e32 v14, v12, v6
	v_lshlrev_b32_e32 v12, v12, v14
	v_cmp_ne_u32_e32 vcc, v12, v6
	v_add_u32_e32 v9, 0xfffffc10, v9
	v_lshl_or_b32 v12, v9, 12, v4
	v_cndmask_b32_e64 v6, 0, 1, vcc
	v_or_b32_e32 v6, v14, v6
	v_cmp_gt_i32_e32 vcc, 1, v9
	v_lshrrev_b32_e32 v5, 16, v5
	v_bitop3_b32 v3, v7, s18, v3 bitop3:0xc8
	v_cndmask_b32_e32 v6, v12, v6, vcc
	v_and_b32_e32 v12, 7, v6
	v_cmp_lt_i32_e32 vcc, 5, v12
	v_cmp_eq_u32_e64 s[0:1], 3, v12
	v_lshrrev_b32_e32 v6, 2, v6
	s_or_b64 vcc, s[0:1], vcc
	v_addc_co_u32_e32 v6, vcc, 0, v6, vcc
	v_cmp_gt_i32_e32 vcc, 31, v9
	s_nop 1
	v_cndmask_b32_e32 v6, v2, v6, vcc
	v_cmp_ne_u32_e32 vcc, 0, v4
	s_nop 1
	v_cndmask_b32_e64 v4, 0, 1, vcc
	v_lshl_or_b32 v4, v4, 9, v2
	v_cmp_eq_u32_e32 vcc, s16, v9
	s_nop 1
	v_cndmask_b32_e32 v4, v6, v4, vcc
	v_lshrrev_b32_e32 v6, 16, v13
	v_and_or_b32 v4, v5, s17, v4
	v_mul_f16_sdwa v5, v15, v6 dst_sel:DWORD dst_unused:UNUSED_PAD src0_sel:WORD_1 src1_sel:DWORD
	v_fma_f16 v5, v15, v13, v5
	v_cvt_f32_f16_e32 v5, v5
	v_lshl_or_b32 v3, v4, 16, v3
	global_store_dword v[0:1], v3, off
	v_lshl_add_u64 v[0:1], v[0:1], 0, s[12:13]
	v_cvt_f64_f32_e32 v[4:5], v5
	v_mul_f64 v[4:5], v[4:5], s[6:7]
	v_and_or_b32 v3, v5, s14, v4
	v_cmp_ne_u32_e32 vcc, 0, v3
	v_lshrrev_b32_e32 v4, 8, v5
	v_bfe_u32 v7, v5, 20, 11
	v_cndmask_b32_e64 v3, 0, 1, vcc
	v_and_or_b32 v3, v4, s15, v3
	v_sub_u32_e32 v9, 0x3f1, v7
	v_or_b32_e32 v4, 0x1000, v3
	v_med3_i32 v9, v9, 0, 13
	v_lshrrev_b32_e32 v12, v9, v4
	v_lshlrev_b32_e32 v9, v9, v12
	v_cmp_ne_u32_e32 vcc, v9, v4
	v_add_u32_e32 v7, 0xfffffc10, v7
	v_lshl_or_b32 v9, v7, 12, v3
	v_cndmask_b32_e64 v4, 0, 1, vcc
	v_or_b32_e32 v4, v12, v4
	v_cmp_gt_i32_e32 vcc, 1, v7
	s_nop 1
	v_cndmask_b32_e32 v4, v9, v4, vcc
	v_and_b32_e32 v9, 7, v4
	v_cmp_lt_i32_e32 vcc, 5, v9
	v_cmp_eq_u32_e64 s[0:1], 3, v9
	v_lshrrev_b32_e32 v4, 2, v4
	s_or_b64 vcc, s[0:1], vcc
	v_mul_f16_sdwa v9, v15, v13 dst_sel:DWORD dst_unused:UNUSED_PAD src0_sel:WORD_1 src1_sel:DWORD
	v_addc_co_u32_e32 v4, vcc, 0, v4, vcc
	v_fma_f16 v6, v15, v6, -v9
	v_cmp_gt_i32_e32 vcc, 31, v7
	v_cvt_f32_f16_e32 v6, v6
	s_nop 0
	v_cndmask_b32_e32 v4, v2, v4, vcc
	v_cmp_ne_u32_e32 vcc, 0, v3
	s_nop 1
	v_cndmask_b32_e64 v3, 0, 1, vcc
	v_lshl_or_b32 v3, v3, 9, v2
	v_cmp_eq_u32_e32 vcc, s16, v7
	v_and_b32_sdwa v7, v5, s17 dst_sel:DWORD dst_unused:UNUSED_PAD src0_sel:WORD_1 src1_sel:DWORD
	s_nop 0
	v_cndmask_b32_e32 v3, v4, v3, vcc
	v_cvt_f64_f32_e32 v[4:5], v6
	v_mul_f64 v[4:5], v[4:5], s[6:7]
	v_and_or_b32 v4, v5, s14, v4
	v_cmp_ne_u32_e32 vcc, 0, v4
	v_lshrrev_b32_e32 v6, 8, v5
	v_bfe_u32 v9, v5, 20, 11
	v_cndmask_b32_e64 v4, 0, 1, vcc
	v_and_or_b32 v4, v6, s15, v4
	v_sub_u32_e32 v12, 0x3f1, v9
	v_or_b32_e32 v6, 0x1000, v4
	v_med3_i32 v12, v12, 0, 13
	v_lshrrev_b32_e32 v13, v12, v6
	v_lshlrev_b32_e32 v12, v12, v13
	v_cmp_ne_u32_e32 vcc, v12, v6
	v_add_u32_e32 v9, 0xfffffc10, v9
	v_lshl_or_b32 v12, v9, 12, v4
	v_cndmask_b32_e64 v6, 0, 1, vcc
	v_or_b32_e32 v6, v13, v6
	v_cmp_gt_i32_e32 vcc, 1, v9
	v_lshrrev_b32_e32 v5, 16, v5
	v_bitop3_b32 v3, v7, s18, v3 bitop3:0xc8
	v_cndmask_b32_e32 v6, v12, v6, vcc
	v_and_b32_e32 v12, 7, v6
	v_cmp_lt_i32_e32 vcc, 5, v12
	v_cmp_eq_u32_e64 s[0:1], 3, v12
	v_lshrrev_b32_e32 v6, 2, v6
	s_or_b64 vcc, s[0:1], vcc
	v_addc_co_u32_e32 v6, vcc, 0, v6, vcc
	v_cmp_gt_i32_e32 vcc, 31, v9
	s_nop 1
	v_cndmask_b32_e32 v6, v2, v6, vcc
	v_cmp_ne_u32_e32 vcc, 0, v4
	s_nop 1
	v_cndmask_b32_e64 v4, 0, 1, vcc
	v_lshl_or_b32 v4, v4, 9, v2
	v_cmp_eq_u32_e32 vcc, s16, v9
	s_nop 1
	v_cndmask_b32_e32 v4, v6, v4, vcc
	v_and_or_b32 v4, v5, s17, v4
	v_lshl_or_b32 v3, v4, 16, v3
	global_store_dword v[0:1], v3, off
	s_and_b64 exec, exec, s[4:5]
	s_cbranch_execz .LBB0_23
; %bb.22:
	global_load_dword v3, v[10:11], off offset:2016
	v_add_co_u32_e32 v4, vcc, s19, v10
	v_lshl_add_u64 v[0:1], s[2:3], 2, v[0:1]
	s_nop 0
	v_addc_co_u32_e32 v5, vcc, 0, v11, vcc
	global_load_dword v10, v[4:5], off offset:188
	ds_read_b32 v4, v8 offset:2016
	ds_read_b32 v11, v8 offset:4284
	s_waitcnt lgkmcnt(1)
	v_lshrrev_b32_e32 v5, 16, v4
	s_waitcnt lgkmcnt(0)
	v_lshrrev_b32_e32 v12, 16, v11
	s_waitcnt vmcnt(1)
	v_mul_f16_sdwa v6, v5, v3 dst_sel:DWORD dst_unused:UNUSED_PAD src0_sel:DWORD src1_sel:WORD_1
	v_mul_f16_sdwa v7, v4, v3 dst_sel:DWORD dst_unused:UNUSED_PAD src0_sel:DWORD src1_sel:WORD_1
	v_fma_f16 v4, v4, v3, v6
	v_fma_f16 v3, v3, v5, -v7
	v_cvt_f32_f16_e32 v4, v4
	v_cvt_f32_f16_e32 v3, v3
	s_waitcnt vmcnt(0)
	v_mul_f16_sdwa v5, v12, v10 dst_sel:DWORD dst_unused:UNUSED_PAD src0_sel:DWORD src1_sel:WORD_1
	v_fma_f16 v5, v11, v10, v5
	v_cvt_f32_f16_e32 v8, v5
	v_cvt_f64_f32_e32 v[4:5], v4
	v_cvt_f64_f32_e32 v[6:7], v3
	v_mul_f64 v[4:5], v[4:5], s[6:7]
	v_mul_f64 v[6:7], v[6:7], s[6:7]
	v_cvt_f64_f32_e32 v[8:9], v8
	v_and_or_b32 v3, v5, s14, v4
	v_lshrrev_b32_e32 v13, 8, v5
	v_bfe_u32 v14, v5, 20, 11
	v_and_b32_sdwa v15, v5, s17 dst_sel:DWORD dst_unused:UNUSED_PAD src0_sel:WORD_1 src1_sel:DWORD
	v_and_or_b32 v6, v7, s14, v6
	v_mul_f64 v[4:5], v[8:9], s[6:7]
	v_cmp_ne_u32_e32 vcc, 0, v3
	v_and_or_b32 v4, v5, s14, v4
	v_lshrrev_b32_e32 v16, 8, v7
	v_cndmask_b32_e64 v3, 0, 1, vcc
	v_cmp_ne_u32_e32 vcc, 0, v6
	v_bfe_u32 v17, v7, 20, 11
	v_sub_u32_e32 v8, 0x3f1, v14
	v_cndmask_b32_e64 v6, 0, 1, vcc
	v_and_or_b32 v3, v13, s15, v3
	v_cmp_ne_u32_e32 vcc, 0, v4
	v_add_u32_e32 v9, 0xfffffc10, v14
	v_sub_u32_e32 v14, 0x3f1, v17
	v_lshrrev_b32_e32 v18, 8, v5
	v_med3_i32 v8, v8, 0, 13
	v_and_or_b32 v6, v16, s15, v6
	v_cndmask_b32_e64 v4, 0, 1, vcc
	v_or_b32_e32 v16, 0x1000, v3
	v_med3_i32 v13, v14, 0, 13
	v_cmp_ne_u32_e32 vcc, 0, v3
	v_or_b32_e32 v21, 0x1000, v6
	v_and_or_b32 v4, v18, s15, v4
	v_lshrrev_b32_e32 v18, v8, v16
	v_add_u32_e32 v17, 0xfffffc10, v17
	v_lshl_or_b32 v20, v9, 12, v3
	v_cndmask_b32_e64 v3, 0, 1, vcc
	v_cmp_ne_u32_e32 vcc, 0, v6
	v_lshrrev_b32_e32 v23, v13, v21
	v_lshlrev_b32_e32 v8, v8, v18
	v_lshl_or_b32 v22, v17, 12, v6
	v_cndmask_b32_e64 v6, 0, 1, vcc
	v_lshlrev_b32_e32 v13, v13, v23
	v_cmp_ne_u32_e32 vcc, v8, v16
	v_lshl_or_b32 v3, v3, 9, v2
	v_lshl_or_b32 v6, v6, 9, v2
	v_cndmask_b32_e64 v8, 0, 1, vcc
	v_cmp_ne_u32_e32 vcc, v13, v21
	v_or_b32_e32 v8, v18, v8
	v_lshrrev_b32_e32 v7, 16, v7
	v_cndmask_b32_e64 v13, 0, 1, vcc
	v_cmp_gt_i32_e32 vcc, 1, v9
	v_or_b32_e32 v13, v23, v13
	v_bfe_u32 v19, v5, 20, 11
	v_cndmask_b32_e32 v8, v20, v8, vcc
	v_cmp_gt_i32_e32 vcc, 1, v17
	v_and_b32_e32 v16, 7, v8
	v_cmp_eq_u32_e64 s[0:1], 3, v16
	v_cndmask_b32_e32 v13, v22, v13, vcc
	v_cmp_lt_i32_e32 vcc, 5, v16
	v_lshrrev_b32_e32 v8, 2, v8
	v_and_b32_e32 v18, 7, v13
	s_or_b64 vcc, s[0:1], vcc
	v_cmp_lt_i32_e64 s[2:3], 5, v18
	v_cmp_eq_u32_e64 s[4:5], 3, v18
	v_addc_co_u32_e32 v8, vcc, 0, v8, vcc
	v_lshrrev_b32_e32 v13, 2, v13
	s_or_b64 vcc, s[4:5], s[2:3]
	v_addc_co_u32_e32 v13, vcc, 0, v13, vcc
	v_cmp_gt_i32_e32 vcc, 31, v9
	v_sub_u32_e32 v14, 0x3f1, v19
	v_med3_i32 v14, v14, 0, 13
	v_cndmask_b32_e32 v8, v2, v8, vcc
	v_cmp_gt_i32_e32 vcc, 31, v17
	v_or_b32_e32 v24, 0x1000, v4
	s_nop 0
	v_cndmask_b32_e32 v13, v2, v13, vcc
	v_cmp_eq_u32_e32 vcc, s16, v9
	s_nop 1
	v_cndmask_b32_e32 v3, v8, v3, vcc
	v_cmp_eq_u32_e32 vcc, s16, v17
	v_bitop3_b32 v3, v15, s18, v3 bitop3:0xc8
	s_nop 0
	v_cndmask_b32_e32 v6, v13, v6, vcc
	v_and_or_b32 v6, v7, s17, v6
	v_lshl_or_b32 v3, v6, 16, v3
	global_store_dword v[0:1], v3, off
	v_lshrrev_b32_e32 v3, v14, v24
	v_lshlrev_b32_e32 v6, v14, v3
	v_cmp_ne_u32_e32 vcc, v6, v24
	v_lshl_add_u64 v[0:1], s[10:11], 2, v[0:1]
	s_nop 0
	v_cndmask_b32_e64 v6, 0, 1, vcc
	v_or_b32_e32 v3, v3, v6
	v_add_u32_e32 v6, 0xfffffc10, v19
	v_lshl_or_b32 v7, v6, 12, v4
	v_cmp_gt_i32_e32 vcc, 1, v6
	s_nop 1
	v_cndmask_b32_e32 v3, v7, v3, vcc
	v_and_b32_e32 v7, 7, v3
	v_cmp_lt_i32_e32 vcc, 5, v7
	v_cmp_eq_u32_e64 s[0:1], 3, v7
	v_lshrrev_b32_e32 v3, 2, v3
	s_or_b64 vcc, s[0:1], vcc
	v_mul_f16_sdwa v7, v11, v10 dst_sel:DWORD dst_unused:UNUSED_PAD src0_sel:DWORD src1_sel:WORD_1
	v_addc_co_u32_e32 v3, vcc, 0, v3, vcc
	v_fma_f16 v7, v10, v12, -v7
	v_cmp_gt_i32_e32 vcc, 31, v6
	v_cvt_f32_f16_e32 v7, v7
	s_nop 0
	v_cndmask_b32_e32 v3, v2, v3, vcc
	v_cmp_ne_u32_e32 vcc, 0, v4
	s_nop 1
	v_cndmask_b32_e64 v4, 0, 1, vcc
	v_lshl_or_b32 v4, v4, 9, v2
	v_cmp_eq_u32_e32 vcc, s16, v6
	v_and_b32_sdwa v6, v5, s17 dst_sel:DWORD dst_unused:UNUSED_PAD src0_sel:WORD_1 src1_sel:DWORD
	s_nop 0
	v_cndmask_b32_e32 v3, v3, v4, vcc
	v_cvt_f64_f32_e32 v[4:5], v7
	v_mul_f64 v[4:5], v[4:5], s[6:7]
	v_and_or_b32 v4, v5, s14, v4
	v_cmp_ne_u32_e32 vcc, 0, v4
	v_lshrrev_b32_e32 v7, 8, v5
	v_bfe_u32 v8, v5, 20, 11
	v_cndmask_b32_e64 v4, 0, 1, vcc
	v_and_or_b32 v4, v7, s15, v4
	v_sub_u32_e32 v9, 0x3f1, v8
	v_or_b32_e32 v7, 0x1000, v4
	v_med3_i32 v9, v9, 0, 13
	v_lshrrev_b32_e32 v10, v9, v7
	v_lshlrev_b32_e32 v9, v9, v10
	v_cmp_ne_u32_e32 vcc, v9, v7
	v_add_u32_e32 v8, 0xfffffc10, v8
	v_lshl_or_b32 v9, v8, 12, v4
	v_cndmask_b32_e64 v7, 0, 1, vcc
	v_or_b32_e32 v7, v10, v7
	v_cmp_gt_i32_e32 vcc, 1, v8
	v_bitop3_b32 v3, v6, s18, v3 bitop3:0xc8
	s_nop 0
	v_cndmask_b32_e32 v7, v9, v7, vcc
	v_and_b32_e32 v9, 7, v7
	v_cmp_lt_i32_e32 vcc, 5, v9
	v_cmp_eq_u32_e64 s[0:1], 3, v9
	v_lshrrev_b32_e32 v7, 2, v7
	s_or_b64 vcc, s[0:1], vcc
	v_addc_co_u32_e32 v7, vcc, 0, v7, vcc
	v_cmp_gt_i32_e32 vcc, 31, v8
	s_nop 1
	v_cndmask_b32_e32 v7, v2, v7, vcc
	v_cmp_ne_u32_e32 vcc, 0, v4
	s_nop 1
	v_cndmask_b32_e64 v4, 0, 1, vcc
	v_lshl_or_b32 v2, v4, 9, v2
	v_cmp_eq_u32_e32 vcc, s16, v8
	v_lshrrev_b32_e32 v4, 16, v5
	s_nop 0
	v_cndmask_b32_e32 v2, v7, v2, vcc
	v_and_or_b32 v2, v4, s17, v2
	v_lshl_or_b32 v2, v2, 16, v3
	global_store_dword v[0:1], v2, off
.LBB0_23:
	s_endpgm
	.section	.rodata,"a",@progbits
	.p2align	6, 0x0
	.amdhsa_kernel bluestein_single_fwd_len1134_dim1_half_op_CI_CI
		.amdhsa_group_segment_fixed_size 4536
		.amdhsa_private_segment_fixed_size 0
		.amdhsa_kernarg_size 104
		.amdhsa_user_sgpr_count 2
		.amdhsa_user_sgpr_dispatch_ptr 0
		.amdhsa_user_sgpr_queue_ptr 0
		.amdhsa_user_sgpr_kernarg_segment_ptr 1
		.amdhsa_user_sgpr_dispatch_id 0
		.amdhsa_user_sgpr_kernarg_preload_length 0
		.amdhsa_user_sgpr_kernarg_preload_offset 0
		.amdhsa_user_sgpr_private_segment_size 0
		.amdhsa_uses_dynamic_stack 0
		.amdhsa_enable_private_segment 0
		.amdhsa_system_sgpr_workgroup_id_x 1
		.amdhsa_system_sgpr_workgroup_id_y 0
		.amdhsa_system_sgpr_workgroup_id_z 0
		.amdhsa_system_sgpr_workgroup_info 0
		.amdhsa_system_vgpr_workitem_id 0
		.amdhsa_next_free_vgpr 107
		.amdhsa_next_free_sgpr 20
		.amdhsa_accum_offset 108
		.amdhsa_reserve_vcc 1
		.amdhsa_float_round_mode_32 0
		.amdhsa_float_round_mode_16_64 0
		.amdhsa_float_denorm_mode_32 3
		.amdhsa_float_denorm_mode_16_64 3
		.amdhsa_dx10_clamp 1
		.amdhsa_ieee_mode 1
		.amdhsa_fp16_overflow 0
		.amdhsa_tg_split 0
		.amdhsa_exception_fp_ieee_invalid_op 0
		.amdhsa_exception_fp_denorm_src 0
		.amdhsa_exception_fp_ieee_div_zero 0
		.amdhsa_exception_fp_ieee_overflow 0
		.amdhsa_exception_fp_ieee_underflow 0
		.amdhsa_exception_fp_ieee_inexact 0
		.amdhsa_exception_int_div_zero 0
	.end_amdhsa_kernel
	.text
.Lfunc_end0:
	.size	bluestein_single_fwd_len1134_dim1_half_op_CI_CI, .Lfunc_end0-bluestein_single_fwd_len1134_dim1_half_op_CI_CI
                                        ; -- End function
	.section	.AMDGPU.csdata,"",@progbits
; Kernel info:
; codeLenInByte = 17232
; NumSgprs: 26
; NumVgprs: 107
; NumAgprs: 0
; TotalNumVgprs: 107
; ScratchSize: 0
; MemoryBound: 0
; FloatMode: 240
; IeeeMode: 1
; LDSByteSize: 4536 bytes/workgroup (compile time only)
; SGPRBlocks: 3
; VGPRBlocks: 13
; NumSGPRsForWavesPerEU: 26
; NumVGPRsForWavesPerEU: 107
; AccumOffset: 108
; Occupancy: 4
; WaveLimiterHint : 1
; COMPUTE_PGM_RSRC2:SCRATCH_EN: 0
; COMPUTE_PGM_RSRC2:USER_SGPR: 2
; COMPUTE_PGM_RSRC2:TRAP_HANDLER: 0
; COMPUTE_PGM_RSRC2:TGID_X_EN: 1
; COMPUTE_PGM_RSRC2:TGID_Y_EN: 0
; COMPUTE_PGM_RSRC2:TGID_Z_EN: 0
; COMPUTE_PGM_RSRC2:TIDIG_COMP_CNT: 0
; COMPUTE_PGM_RSRC3_GFX90A:ACCUM_OFFSET: 26
; COMPUTE_PGM_RSRC3_GFX90A:TG_SPLIT: 0
	.text
	.p2alignl 6, 3212836864
	.fill 256, 4, 3212836864
	.type	__hip_cuid_d2293034d24afe0,@object ; @__hip_cuid_d2293034d24afe0
	.section	.bss,"aw",@nobits
	.globl	__hip_cuid_d2293034d24afe0
__hip_cuid_d2293034d24afe0:
	.byte	0                               ; 0x0
	.size	__hip_cuid_d2293034d24afe0, 1

	.ident	"AMD clang version 19.0.0git (https://github.com/RadeonOpenCompute/llvm-project roc-6.4.0 25133 c7fe45cf4b819c5991fe208aaa96edf142730f1d)"
	.section	".note.GNU-stack","",@progbits
	.addrsig
	.addrsig_sym __hip_cuid_d2293034d24afe0
	.amdgpu_metadata
---
amdhsa.kernels:
  - .agpr_count:     0
    .args:
      - .actual_access:  read_only
        .address_space:  global
        .offset:         0
        .size:           8
        .value_kind:     global_buffer
      - .actual_access:  read_only
        .address_space:  global
        .offset:         8
        .size:           8
        .value_kind:     global_buffer
      - .actual_access:  read_only
        .address_space:  global
        .offset:         16
        .size:           8
        .value_kind:     global_buffer
      - .actual_access:  read_only
        .address_space:  global
        .offset:         24
        .size:           8
        .value_kind:     global_buffer
      - .actual_access:  read_only
        .address_space:  global
        .offset:         32
        .size:           8
        .value_kind:     global_buffer
      - .offset:         40
        .size:           8
        .value_kind:     by_value
      - .address_space:  global
        .offset:         48
        .size:           8
        .value_kind:     global_buffer
      - .address_space:  global
        .offset:         56
        .size:           8
        .value_kind:     global_buffer
      - .address_space:  global
        .offset:         64
        .size:           8
        .value_kind:     global_buffer
      - .address_space:  global
        .offset:         72
        .size:           8
        .value_kind:     global_buffer
      - .offset:         80
        .size:           4
        .value_kind:     by_value
      - .address_space:  global
        .offset:         88
        .size:           8
        .value_kind:     global_buffer
      - .address_space:  global
        .offset:         96
        .size:           8
        .value_kind:     global_buffer
    .group_segment_fixed_size: 4536
    .kernarg_segment_align: 8
    .kernarg_segment_size: 104
    .language:       OpenCL C
    .language_version:
      - 2
      - 0
    .max_flat_workgroup_size: 126
    .name:           bluestein_single_fwd_len1134_dim1_half_op_CI_CI
    .private_segment_fixed_size: 0
    .sgpr_count:     26
    .sgpr_spill_count: 0
    .symbol:         bluestein_single_fwd_len1134_dim1_half_op_CI_CI.kd
    .uniform_work_group_size: 1
    .uses_dynamic_stack: false
    .vgpr_count:     107
    .vgpr_spill_count: 0
    .wavefront_size: 64
amdhsa.target:   amdgcn-amd-amdhsa--gfx950
amdhsa.version:
  - 1
  - 2
...

	.end_amdgpu_metadata
